;; amdgpu-corpus repo=ROCm/rocFFT kind=compiled arch=gfx950 opt=O3
	.text
	.amdgcn_target "amdgcn-amd-amdhsa--gfx950"
	.amdhsa_code_object_version 6
	.protected	bluestein_single_fwd_len1875_dim1_sp_op_CI_CI ; -- Begin function bluestein_single_fwd_len1875_dim1_sp_op_CI_CI
	.globl	bluestein_single_fwd_len1875_dim1_sp_op_CI_CI
	.p2align	8
	.type	bluestein_single_fwd_len1875_dim1_sp_op_CI_CI,@function
bluestein_single_fwd_len1875_dim1_sp_op_CI_CI: ; @bluestein_single_fwd_len1875_dim1_sp_op_CI_CI
; %bb.0:
	s_load_dwordx4 s[16:19], s[0:1], 0x28
	v_mul_u32_u24_e32 v1, 0x20d, v0
	v_lshrrev_b32_e32 v1, 16, v1
	v_lshl_add_u32 v80, s2, 1, v1
	v_mov_b32_e32 v81, 0
	s_waitcnt lgkmcnt(0)
	v_cmp_gt_u64_e32 vcc, s[16:17], v[80:81]
	s_and_saveexec_b64 s[2:3], vcc
	s_cbranch_execz .LBB0_2
; %bb.1:
	s_load_dwordx4 s[12:15], s[0:1], 0x18
	s_load_dwordx4 s[8:11], s[0:1], 0x0
	v_mov_b32_e32 v2, s18
	v_mov_b32_e32 v3, s19
	;; [unrolled: 1-line block ×3, first 2 shown]
	s_waitcnt lgkmcnt(0)
	s_load_dwordx4 s[4:7], s[14:15], 0x0
	s_waitcnt lgkmcnt(0)
	v_mad_u64_u32 v[100:101], s[2:3], s6, v80, 0
	s_load_dwordx4 s[12:15], s[12:13], 0x0
	v_mov_b32_e32 v6, v101
	v_mad_u64_u32 v[116:117], s[2:3], s7, v80, v[6:7]
	v_mov_b32_e32 v117, 0xbb8
	s_waitcnt lgkmcnt(0)
	v_mad_u64_u32 v[4:5], s[2:3], s14, v80, 0
	v_mov_b32_e32 v6, v5
	v_mad_u64_u32 v[6:7], s[2:3], s15, v80, v[6:7]
	v_mov_b32_e32 v5, v6
	v_mul_lo_u16_e32 v6, 0x7d, v1
	v_sub_u16_e32 v110, v0, v6
	v_mad_u64_u32 v[6:7], s[2:3], s12, v110, 0
	v_mov_b32_e32 v0, v7
	v_mad_u64_u32 v[8:9], s[2:3], s13, v110, v[0:1]
	v_mov_b32_e32 v7, v8
	v_lshl_add_u64 v[2:3], v[4:5], 3, v[2:3]
	v_lshl_add_u64 v[2:3], v[6:7], 3, v[2:3]
	global_load_dwordx2 v[4:5], v[2:3], off
	v_mad_u64_u32 v[2:3], s[2:3], s12, v117, v[2:3]
	s_mul_i32 s2, s13, 0xbb8
	s_nop 0
	v_add_u32_e32 v3, s2, v3
	v_lshlrev_b32_e32 v80, 3, v110
	v_mad_u64_u32 v[6:7], s[6:7], s12, v117, v[2:3]
	v_lshl_add_u64 v[120:121], s[8:9], 0, v[80:81]
	v_add_u32_e32 v7, s2, v7
	s_movk_i32 s3, 0x1000
	v_add_co_u32_e32 v8, vcc, s3, v120
	v_mad_u64_u32 v[10:11], s[6:7], s12, v117, v[6:7]
	s_nop 0
	v_addc_co_u32_e32 v9, vcc, 0, v121, vcc
	v_add_u32_e32 v11, s2, v11
	s_movk_i32 s6, 0x2000
	v_add_co_u32_e32 v12, vcc, s6, v120
	v_mad_u64_u32 v[14:15], s[6:7], s12, v117, v[10:11]
	s_nop 0
	v_addc_co_u32_e32 v13, vcc, 0, v121, vcc
	v_add_u32_e32 v15, s2, v15
	global_load_dwordx2 v[118:119], v80, s[8:9]
	global_load_dwordx2 v[114:115], v80, s[8:9] offset:3000
	global_load_dwordx2 v[112:113], v[8:9], off offset:1904
	global_load_dwordx2 v[108:109], v[12:13], off offset:808
	global_load_dwordx2 v[16:17], v[2:3], off
	global_load_dwordx2 v[18:19], v[6:7], off
	;; [unrolled: 1-line block ×4, first 2 shown]
	global_load_dwordx2 v[104:105], v[12:13], off offset:3808
	v_mad_u64_u32 v[2:3], s[6:7], s12, v123, v[14:15]
	s_mul_i32 s6, s13, 0xffffd508
	s_sub_i32 s13, s6, s12
	v_add_u32_e32 v3, s13, v3
	global_load_dwordx2 v[6:7], v[2:3], off
	global_load_dwordx2 v[106:107], v80, s[8:9] offset:1000
	v_mad_u64_u32 v[2:3], s[6:7], s12, v117, v[2:3]
	v_add_u32_e32 v3, s2, v3
	global_load_dwordx2 v[10:11], v[2:3], off
	global_load_dwordx2 v[102:103], v80, s[8:9] offset:4000
	v_mad_u64_u32 v[2:3], s[6:7], s12, v117, v[2:3]
	v_add_u32_e32 v3, s2, v3
	global_load_dwordx2 v[14:15], v[2:3], off
	global_load_dwordx2 v[96:97], v[8:9], off offset:2904
	v_mad_u64_u32 v[2:3], s[6:7], s12, v117, v[2:3]
	v_add_u32_e32 v3, s2, v3
	global_load_dwordx2 v[24:25], v[2:3], off
	global_load_dwordx2 v[92:93], v[12:13], off offset:1808
	v_mad_u64_u32 v[2:3], s[6:7], s12, v117, v[2:3]
	v_add_u32_e32 v3, s2, v3
	s_movk_i32 s6, 0x3000
	global_load_dwordx2 v[26:27], v[2:3], off
	v_add_co_u32_e32 v132, vcc, s6, v120
	v_mad_u64_u32 v[2:3], s[6:7], s12, v123, v[2:3]
	s_nop 0
	v_addc_co_u32_e32 v133, vcc, 0, v121, vcc
	v_add_u32_e32 v3, s13, v3
	global_load_dwordx2 v[94:95], v[132:133], off offset:712
	global_load_dwordx2 v[28:29], v[2:3], off
	global_load_dwordx2 v[90:91], v80, s[8:9] offset:2000
	v_mad_u64_u32 v[2:3], s[6:7], s12, v117, v[2:3]
	v_add_u32_e32 v3, s2, v3
	global_load_dwordx2 v[30:31], v[2:3], off
	global_load_dwordx2 v[86:87], v[8:9], off offset:3904
	global_load_dwordx2 v[98:99], v[8:9], off offset:904
	v_mad_u64_u32 v[2:3], s[6:7], s12, v117, v[2:3]
	v_add_u32_e32 v3, s2, v3
	global_load_dwordx2 v[8:9], v[2:3], off
	v_mad_u64_u32 v[2:3], s[6:7], s12, v117, v[2:3]
	v_add_u32_e32 v3, s2, v3
	global_load_dwordx2 v[32:33], v[2:3], off
	global_load_dwordx2 v[88:89], v[12:13], off offset:2808
	v_mad_u64_u32 v[2:3], s[6:7], s12, v117, v[2:3]
	v_add_u32_e32 v3, s2, v3
	global_load_dwordx2 v[12:13], v[2:3], off
	global_load_dwordx2 v[84:85], v[132:133], off offset:1712
	v_and_b32_e32 v0, 1, v1
	v_mov_b32_e32 v1, 0x3a98
	v_cmp_eq_u32_e32 vcc, 1, v0
	s_mov_b32 s2, 0x3f737871
	s_mov_b32 s6, 0x3f167918
	v_cndmask_b32_e32 v62, 0, v1, vcc
	v_add_u32_e32 v125, v62, v80
	v_add_u32_e32 v129, 0xc00, v125
	;; [unrolled: 1-line block ×7, first 2 shown]
	s_mov_b32 s8, 0x3e9e377a
	s_mov_b64 s[12:13], 0x7d
	s_load_dwordx2 s[0:1], s[0:1], 0x38
	s_waitcnt vmcnt(28)
	v_mul_f32_e32 v0, v5, v119
	s_waitcnt vmcnt(24)
	v_mul_f32_e32 v2, v17, v115
	v_mul_f32_e32 v3, v16, v115
	v_fmac_f32_e32 v2, v16, v114
	v_fma_f32 v3, v17, v114, -v3
	ds_write_b64 v125, v[2:3] offset:3000
	s_waitcnt vmcnt(23)
	v_mul_f32_e32 v2, v19, v113
	v_mul_f32_e32 v3, v18, v113
	v_fmac_f32_e32 v2, v18, v112
	v_fma_f32 v3, v19, v112, -v3
	ds_write_b64 v125, v[2:3] offset:6000
	;; [unrolled: 6-line block ×3, first 2 shown]
	s_waitcnt vmcnt(20)
	v_mul_f32_e32 v2, v23, v105
	v_mul_f32_e32 v3, v22, v105
	v_fmac_f32_e32 v2, v22, v104
	v_fma_f32 v3, v23, v104, -v3
	v_mul_f32_e32 v1, v4, v119
	ds_write_b64 v125, v[2:3] offset:12000
	s_waitcnt vmcnt(18)
	v_mul_f32_e32 v2, v7, v107
	v_mul_f32_e32 v3, v6, v107
	v_fmac_f32_e32 v0, v4, v118
	v_fma_f32 v1, v5, v118, -v1
	v_fmac_f32_e32 v2, v6, v106
	v_fma_f32 v3, v7, v106, -v3
	ds_write2_b64 v125, v[0:1], v[2:3] offset1:125
	s_waitcnt vmcnt(16)
	v_mul_f32_e32 v0, v11, v103
	v_mul_f32_e32 v1, v10, v103
	v_fmac_f32_e32 v0, v10, v102
	v_fma_f32 v1, v11, v102, -v1
	s_waitcnt vmcnt(14)
	v_mul_f32_e32 v2, v15, v97
	v_mul_f32_e32 v3, v14, v97
	v_fmac_f32_e32 v2, v14, v96
	s_waitcnt vmcnt(8)
	v_mul_f32_e32 v10, v29, v91
	v_mul_f32_e32 v11, v28, v91
	v_fmac_f32_e32 v10, v28, v90
	v_fma_f32 v11, v29, v90, -v11
	ds_write_b64 v125, v[10:11] offset:2000
	s_waitcnt vmcnt(5)
	v_mul_f32_e32 v10, v31, v99
	v_mul_f32_e32 v11, v30, v99
	v_fmac_f32_e32 v10, v30, v98
	v_fma_f32 v11, v31, v98, -v11
	ds_write2_b64 v129, v[0:1], v[10:11] offset0:116 offset1:241
	s_waitcnt vmcnt(4)
	v_mul_f32_e32 v0, v9, v87
	v_mul_f32_e32 v1, v8, v87
	v_fma_f32 v3, v15, v96, -v3
	v_fmac_f32_e32 v0, v8, v86
	v_fma_f32 v1, v9, v86, -v1
	v_add_u32_e32 v8, 0x1800, v125
	v_mul_f32_e32 v4, v25, v93
	v_mul_f32_e32 v5, v24, v93
	ds_write2_b64 v8, v[2:3], v[0:1] offset0:107 offset1:232
	s_waitcnt vmcnt(2)
	v_mul_f32_e32 v0, v33, v89
	v_mul_f32_e32 v1, v32, v89
	v_fmac_f32_e32 v4, v24, v92
	v_fma_f32 v5, v25, v92, -v5
	v_fmac_f32_e32 v0, v32, v88
	v_fma_f32 v1, v33, v88, -v1
	v_mul_f32_e32 v6, v27, v95
	v_mul_f32_e32 v7, v26, v95
	ds_write2_b64 v127, v[4:5], v[0:1] offset0:98 offset1:223
	s_waitcnt vmcnt(0)
	v_mul_f32_e32 v0, v13, v85
	v_mul_f32_e32 v1, v12, v85
	v_fmac_f32_e32 v6, v26, v94
	v_fma_f32 v7, v27, v94, -v7
	v_fmac_f32_e32 v0, v12, v84
	v_fma_f32 v1, v13, v84, -v1
	v_add_u32_e32 v2, 0x3000, v125
	ds_write2_b64 v2, v[6:7], v[0:1] offset0:89 offset1:214
	v_mul_lo_u16_e32 v0, 5, v110
	s_waitcnt lgkmcnt(0)
	s_barrier
	v_lshl_add_u32 v101, v0, 3, v62
	ds_read2_b64 v[0:3], v125 offset1:125
	ds_read2_b64 v[4:7], v129 offset0:116 offset1:241
	ds_read2_b64 v[8:11], v135 offset0:110 offset1:235
	;; [unrolled: 1-line block ×5, first 2 shown]
	ds_read_b64 v[28:29], v125 offset:14000
	s_waitcnt lgkmcnt(2)
	v_pk_add_f32 v[24:25], v[8:9], v[18:19]
	s_waitcnt lgkmcnt(1)
	v_pk_add_f32 v[30:31], v[22:23], v[12:13] neg_lo:[0,1] neg_hi:[0,1]
	v_pk_fma_f32 v[24:25], v[24:25], 0.5, v[0:1] op_sel_hi:[1,0,1] neg_lo:[1,0,0] neg_hi:[1,0,0]
	v_pk_mul_f32 v[26:27], v[30:31], s[2:3] op_sel_hi:[1,0]
	v_pk_add_f32 v[32:33], v[8:9], v[18:19] neg_lo:[0,1] neg_hi:[0,1]
	v_pk_add_f32 v[34:35], v[22:23], v[8:9] neg_lo:[0,1] neg_hi:[0,1]
	;; [unrolled: 1-line block ×3, first 2 shown]
	s_nop 0
	v_pk_add_f32 v[34:35], v[34:35], v[36:37]
	v_pk_add_f32 v[36:37], v[24:25], v[26:27] op_sel:[0,1] op_sel_hi:[1,0]
	v_pk_add_f32 v[24:25], v[24:25], v[26:27] op_sel:[0,1] op_sel_hi:[1,0] neg_lo:[0,1] neg_hi:[0,1]
	v_pk_mul_f32 v[26:27], v[32:33], s[6:7] op_sel_hi:[1,0]
	s_nop 0
	v_pk_add_f32 v[38:39], v[24:25], v[26:27] op_sel:[0,1] op_sel_hi:[1,0] neg_lo:[0,1] neg_hi:[0,1]
	v_pk_add_f32 v[24:25], v[0:1], v[22:23]
	v_pk_add_f32 v[36:37], v[36:37], v[26:27] op_sel:[0,1] op_sel_hi:[1,0]
	v_pk_add_f32 v[24:25], v[24:25], v[8:9]
	v_pk_add_f32 v[8:9], v[8:9], v[22:23] neg_lo:[0,1] neg_hi:[0,1]
	v_pk_add_f32 v[24:25], v[24:25], v[18:19]
	v_pk_add_f32 v[18:19], v[18:19], v[12:13] neg_lo:[0,1] neg_hi:[0,1]
	v_pk_add_f32 v[40:41], v[24:25], v[12:13]
	v_pk_add_f32 v[12:13], v[22:23], v[12:13]
	ds_read2_b64 v[24:27], v127 offset0:98 offset1:223
	v_pk_fma_f32 v[0:1], v[12:13], 0.5, v[0:1] op_sel_hi:[1,0,1] neg_lo:[1,0,0] neg_hi:[1,0,0]
	v_pk_mul_f32 v[12:13], v[32:33], s[2:3] op_sel_hi:[1,0]
	v_pk_add_f32 v[8:9], v[8:9], v[18:19]
	v_pk_add_f32 v[18:19], v[0:1], v[12:13] op_sel:[0,1] op_sel_hi:[1,0] neg_lo:[0,1] neg_hi:[0,1]
	v_pk_add_f32 v[0:1], v[0:1], v[12:13] op_sel:[0,1] op_sel_hi:[1,0]
	v_pk_mul_f32 v[12:13], v[30:31], s[6:7] op_sel_hi:[1,0]
	s_waitcnt lgkmcnt(0)
	v_pk_add_f32 v[0:1], v[0:1], v[12:13] op_sel:[0,1] op_sel_hi:[1,0] neg_lo:[0,1] neg_hi:[0,1]
	v_pk_add_f32 v[12:13], v[18:19], v[12:13] op_sel:[0,1] op_sel_hi:[1,0]
	v_mov_b32_e32 v19, v1
	v_mov_b32_e32 v18, v12
	;; [unrolled: 1-line block ×3, first 2 shown]
	v_pk_fma_f32 v[12:13], v[8:9], s[8:9], v[18:19] op_sel_hi:[1,0,1]
	v_pk_fma_f32 v[0:1], v[8:9], s[8:9], v[0:1] op_sel_hi:[1,0,1]
	s_barrier
	ds_write2_b64 v101, v[12:13], v[0:1] offset0:2 offset1:3
	v_pk_add_f32 v[12:13], v[4:5], v[10:11] neg_lo:[0,1] neg_hi:[0,1]
	v_pk_add_f32 v[18:19], v[14:15], v[24:25] neg_lo:[0,1] neg_hi:[0,1]
	v_pk_add_f32 v[0:1], v[10:11], v[24:25]
	v_pk_add_f32 v[8:9], v[4:5], v[14:15]
	;; [unrolled: 1-line block ×3, first 2 shown]
	v_pk_add_f32 v[18:19], v[4:5], v[14:15] neg_lo:[0,1] neg_hi:[0,1]
	v_pk_fma_f32 v[0:1], v[0:1], 0.5, v[2:3] op_sel_hi:[1,0,1] neg_lo:[1,0,0] neg_hi:[1,0,0]
	v_pk_fma_f32 v[8:9], v[8:9], 0.5, v[2:3] op_sel_hi:[1,0,1] neg_lo:[1,0,0] neg_hi:[1,0,0]
	v_pk_add_f32 v[2:3], v[2:3], v[4:5]
	v_pk_mul_f32 v[22:23], v[18:19], s[2:3] op_sel_hi:[1,0]
	v_pk_add_f32 v[2:3], v[2:3], v[10:11]
	v_pk_add_f32 v[30:31], v[0:1], v[22:23] op_sel:[0,1] op_sel_hi:[1,0]
	v_pk_add_f32 v[0:1], v[0:1], v[22:23] op_sel:[0,1] op_sel_hi:[1,0] neg_lo:[0,1] neg_hi:[0,1]
	v_pk_add_f32 v[22:23], v[10:11], v[24:25] neg_lo:[0,1] neg_hi:[0,1]
	v_pk_add_f32 v[4:5], v[10:11], v[4:5] neg_lo:[0,1] neg_hi:[0,1]
	;; [unrolled: 1-line block ×3, first 2 shown]
	v_pk_add_f32 v[2:3], v[2:3], v[24:25]
	v_pk_add_f32 v[4:5], v[4:5], v[10:11]
	v_pk_mul_f32 v[10:11], v[22:23], s[2:3] op_sel_hi:[1,0]
	v_pk_add_f32 v[2:3], v[2:3], v[14:15]
	v_pk_add_f32 v[14:15], v[8:9], v[10:11] op_sel:[0,1] op_sel_hi:[1,0] neg_lo:[0,1] neg_hi:[0,1]
	v_pk_add_f32 v[8:9], v[8:9], v[10:11] op_sel:[0,1] op_sel_hi:[1,0]
	v_pk_mul_f32 v[10:11], v[18:19], s[6:7] op_sel_hi:[1,0]
	v_pk_mul_f32 v[32:33], v[22:23], s[6:7] op_sel_hi:[1,0]
	v_pk_add_f32 v[8:9], v[8:9], v[10:11] op_sel:[0,1] op_sel_hi:[1,0] neg_lo:[0,1] neg_hi:[0,1]
	v_pk_add_f32 v[10:11], v[14:15], v[10:11] op_sel:[0,1] op_sel_hi:[1,0]
	s_mov_b32 s7, 0
	v_pk_add_f32 v[0:1], v[0:1], v[32:33] op_sel:[0,1] op_sel_hi:[1,0] neg_lo:[0,1] neg_hi:[0,1]
	v_pk_add_f32 v[30:31], v[30:31], v[32:33] op_sel:[0,1] op_sel_hi:[1,0]
	v_mov_b32_e32 v14, v10
	v_mov_b32_e32 v15, v9
	;; [unrolled: 1-line block ×4, first 2 shown]
	v_pk_fma_f32 v[10:11], v[4:5], s[8:9], v[14:15] op_sel_hi:[1,0,1]
	v_pk_fma_f32 v[4:5], v[4:5], s[8:9], v[8:9] op_sel_hi:[1,0,1]
	v_mov_b32_e32 v8, v30
	v_mov_b32_e32 v9, v1
	;; [unrolled: 1-line block ×3, first 2 shown]
	v_lshl_add_u64 v[60:61], v[110:111], 0, s[12:13]
	s_mov_b64 s[12:13], 0xfa
	v_pk_fma_f32 v[8:9], v[12:13], s[8:9], v[8:9] op_sel_hi:[1,0,1]
	v_pk_fma_f32 v[0:1], v[12:13], s[8:9], v[0:1] op_sel_hi:[1,0,1]
	v_lshl_add_u64 v[72:73], v[110:111], 0, s[12:13]
	v_mul_u32_u24_e32 v12, 5, v60
	v_mov_b32_e32 v42, v36
	v_mov_b32_e32 v43, v39
	v_lshl_add_u32 v141, v12, 3, v62
	v_mov_b32_e32 v39, v37
	v_mul_u32_u24_e32 v12, 5, v72
	v_pk_fma_f32 v[42:43], v[34:35], s[8:9], v[42:43] op_sel_hi:[1,0,1]
	v_lshl_add_u32 v111, v12, 3, v62
	v_pk_fma_f32 v[12:13], v[34:35], s[8:9], v[38:39] op_sel_hi:[1,0,1]
	ds_write2_b64 v101, v[40:41], v[42:43] offset1:1
	ds_write_b64 v101, v[12:13] offset:32
	ds_write2_b64 v141, v[2:3], v[8:9] offset1:1
	ds_write2_b64 v141, v[10:11], v[4:5] offset0:2 offset1:3
	ds_write_b64 v141, v[0:1] offset:32
	v_pk_add_f32 v[0:1], v[16:17], v[26:27]
	v_pk_add_f32 v[2:3], v[6:7], v[28:29] neg_lo:[0,1] neg_hi:[0,1]
	v_pk_fma_f32 v[0:1], v[0:1], 0.5, v[20:21] op_sel_hi:[1,0,1] neg_lo:[1,0,0] neg_hi:[1,0,0]
	v_pk_mul_f32 v[4:5], v[2:3], s[2:3] op_sel_hi:[1,0]
	v_pk_add_f32 v[8:9], v[16:17], v[26:27] neg_lo:[0,1] neg_hi:[0,1]
	v_pk_add_f32 v[10:11], v[6:7], v[16:17] neg_lo:[0,1] neg_hi:[0,1]
	;; [unrolled: 1-line block ×3, first 2 shown]
	v_pk_add_f32 v[14:15], v[20:21], v[6:7]
	v_pk_add_f32 v[10:11], v[10:11], v[12:13]
	v_pk_add_f32 v[12:13], v[0:1], v[4:5] op_sel:[0,1] op_sel_hi:[1,0]
	v_pk_add_f32 v[0:1], v[0:1], v[4:5] op_sel:[0,1] op_sel_hi:[1,0] neg_lo:[0,1] neg_hi:[0,1]
	v_pk_mul_f32 v[4:5], v[8:9], s[6:7] op_sel_hi:[1,0]
	v_pk_add_f32 v[14:15], v[14:15], v[16:17]
	v_pk_add_f32 v[0:1], v[0:1], v[4:5] op_sel:[0,1] op_sel_hi:[1,0] neg_lo:[0,1] neg_hi:[0,1]
	v_pk_add_f32 v[4:5], v[12:13], v[4:5] op_sel:[0,1] op_sel_hi:[1,0]
	v_pk_add_f32 v[14:15], v[14:15], v[26:27]
	v_mov_b32_e32 v12, v4
	v_mov_b32_e32 v13, v1
	v_pk_add_f32 v[14:15], v[14:15], v[28:29]
	v_pk_fma_f32 v[12:13], v[10:11], s[8:9], v[12:13] op_sel_hi:[1,0,1]
	ds_write2_b64 v111, v[14:15], v[12:13] offset1:1
	v_pk_add_f32 v[12:13], v[6:7], v[28:29]
	v_pk_add_f32 v[6:7], v[16:17], v[6:7] neg_lo:[0,1] neg_hi:[0,1]
	v_pk_fma_f32 v[12:13], v[12:13], 0.5, v[20:21] op_sel_hi:[1,0,1] neg_lo:[1,0,0] neg_hi:[1,0,0]
	v_pk_add_f32 v[14:15], v[26:27], v[28:29] neg_lo:[0,1] neg_hi:[0,1]
	v_pk_mul_f32 v[8:9], v[8:9], s[2:3] op_sel_hi:[1,0]
	v_pk_add_f32 v[6:7], v[6:7], v[14:15]
	v_pk_mul_f32 v[2:3], v[2:3], s[6:7] op_sel_hi:[1,0]
	v_pk_add_f32 v[14:15], v[12:13], v[8:9] op_sel:[0,1] op_sel_hi:[1,0] neg_lo:[0,1] neg_hi:[0,1]
	v_pk_add_f32 v[8:9], v[12:13], v[8:9] op_sel:[0,1] op_sel_hi:[1,0]
	v_mov_b32_e32 v1, v5
	v_pk_add_f32 v[8:9], v[8:9], v[2:3] op_sel:[0,1] op_sel_hi:[1,0] neg_lo:[0,1] neg_hi:[0,1]
	v_pk_add_f32 v[2:3], v[14:15], v[2:3] op_sel:[0,1] op_sel_hi:[1,0]
	v_mov_b32_e32 v13, v9
	v_mov_b32_e32 v12, v2
	;; [unrolled: 1-line block ×3, first 2 shown]
	v_pk_fma_f32 v[0:1], v[10:11], s[8:9], v[0:1] op_sel_hi:[1,0,1]
	s_movk_i32 s7, 0xcd
	v_pk_fma_f32 v[12:13], v[6:7], s[8:9], v[12:13] op_sel_hi:[1,0,1]
	v_pk_fma_f32 v[2:3], v[6:7], s[8:9], v[8:9] op_sel_hi:[1,0,1]
	ds_write_b64 v111, v[0:1] offset:32
	v_mul_lo_u16_sdwa v0, v60, s7 dst_sel:DWORD dst_unused:UNUSED_PAD src0_sel:BYTE_0 src1_sel:DWORD
	s_mov_b32 s9, 0xcccd
	v_lshrrev_b16_e32 v33, 10, v0
	v_mul_u32_u24_sdwa v0, v72, s9 dst_sel:DWORD dst_unused:UNUSED_PAD src0_sel:WORD_0 src1_sel:DWORD
	v_lshrrev_b32_e32 v61, 18, v0
	v_mul_lo_u16_e32 v0, 5, v61
	v_sub_u16_e32 v63, v72, v0
	v_lshlrev_b16_e32 v0, 2, v63
	ds_write2_b64 v111, v[12:13], v[2:3] offset0:2 offset1:3
	v_lshlrev_b32_e32 v12, 3, v0
	s_waitcnt lgkmcnt(0)
	s_barrier
	global_load_dwordx4 v[4:7], v12, s[10:11]
	v_mul_lo_u16_e32 v0, 5, v33
	v_mov_b32_e32 v32, 5
	v_sub_u16_e32 v73, v60, v0
	v_lshlrev_b32_sdwa v13, v32, v73 dst_sel:DWORD dst_unused:UNUSED_PAD src0_sel:DWORD src1_sel:BYTE_0
	global_load_dwordx4 v[0:3], v13, s[10:11]
	global_load_dwordx4 v[8:11], v12, s[10:11] offset:16
	global_load_dwordx4 v[16:19], v13, s[10:11] offset:16
	v_mul_lo_u16_sdwa v12, v110, s7 dst_sel:DWORD dst_unused:UNUSED_PAD src0_sel:BYTE_0 src1_sel:DWORD
	v_lshrrev_b16_e32 v80, 10, v12
	v_mul_lo_u16_e32 v12, 5, v80
	v_sub_u16_e32 v134, v110, v12
	v_lshlrev_b32_sdwa v20, v32, v134 dst_sel:DWORD dst_unused:UNUSED_PAD src0_sel:DWORD src1_sel:BYTE_0
	global_load_dwordx4 v[12:15], v20, s[10:11]
	global_load_dwordx4 v[28:31], v20, s[10:11] offset:16
	ds_read2_b64 v[20:23], v129 offset0:116 offset1:241
	ds_read2_b64 v[24:27], v127 offset0:98 offset1:223
	ds_read_b64 v[146:147], v125 offset:14000
	v_mul_u32_u24_e32 v33, 25, v33
	v_add_u32_sdwa v33, v33, v73 dst_sel:DWORD dst_unused:UNUSED_PAD src0_sel:DWORD src1_sel:BYTE_0
	s_mov_b64 s[12:13], 0x3a98
	s_waitcnt vmcnt(5) lgkmcnt(2)
	v_pk_mul_f32 v[34:35], v[22:23], v[4:5] op_sel:[0,1]
	s_nop 0
	v_pk_fma_f32 v[36:37], v[22:23], v[4:5], v[34:35] op_sel:[0,0,1] op_sel_hi:[1,1,0] neg_lo:[0,0,1] neg_hi:[0,0,1]
	v_pk_fma_f32 v[34:35], v[22:23], v[4:5], v[34:35] op_sel:[0,0,1] op_sel_hi:[1,0,0]
	s_waitcnt vmcnt(4)
	v_pk_mul_f32 v[22:23], v[20:21], v[0:1] op_sel:[0,1]
	v_mov_b32_e32 v124, v3
	v_pk_fma_f32 v[38:39], v[20:21], v[0:1], v[22:23] op_sel:[0,0,1] op_sel_hi:[1,1,0] neg_lo:[0,0,1] neg_hi:[0,0,1]
	v_pk_fma_f32 v[40:41], v[20:21], v[0:1], v[22:23] op_sel:[0,0,1] op_sel_hi:[1,0,0]
	s_waitcnt vmcnt(3) lgkmcnt(1)
	v_pk_mul_f32 v[20:21], v[26:27], v[8:9] op_sel:[0,1]
	v_mov_b32_e32 v126, v7
	v_pk_fma_f32 v[42:43], v[26:27], v[8:9], v[20:21] op_sel:[0,0,1] op_sel_hi:[1,1,0] neg_lo:[0,0,1] neg_hi:[0,0,1]
	v_pk_fma_f32 v[44:45], v[26:27], v[8:9], v[20:21] op_sel:[0,0,1] op_sel_hi:[1,0,0]
	ds_read2_b64 v[20:23], v135 offset0:110 offset1:235
	s_waitcnt vmcnt(2)
	v_pk_mul_f32 v[26:27], v[24:25], v[16:17] op_sel:[0,1]
	s_waitcnt vmcnt(1)
	v_mov_b32_e32 v122, v15
	v_pk_fma_f32 v[46:47], v[24:25], v[16:17], v[26:27] op_sel:[0,0,1] op_sel_hi:[1,1,0] neg_lo:[0,0,1] neg_hi:[0,0,1]
	v_pk_fma_f32 v[48:49], v[24:25], v[16:17], v[26:27] op_sel:[0,0,1] op_sel_hi:[1,0,0]
	s_waitcnt lgkmcnt(0)
	v_pk_mul_f32 v[24:25], v[22:23], v[124:125] op_sel_hi:[1,0]
	v_pk_mul_f32 v[26:27], v[20:21], v[122:123] op_sel_hi:[1,0]
	v_pk_fma_f32 v[50:51], v[22:23], v[2:3], v[24:25] op_sel:[0,0,1] op_sel_hi:[1,1,0] neg_lo:[0,0,1] neg_hi:[0,0,1]
	v_pk_fma_f32 v[52:53], v[22:23], v[2:3], v[24:25] op_sel:[0,0,1] op_sel_hi:[1,0,0]
	ds_read2_b64 v[22:25], v137 offset0:104 offset1:229
	v_pk_fma_f32 v[54:55], v[20:21], v[14:15], v[26:27] op_sel:[0,0,1] op_sel_hi:[1,1,0] neg_lo:[0,0,1] neg_hi:[0,0,1]
	v_pk_fma_f32 v[26:27], v[20:21], v[14:15], v[26:27] op_sel:[0,0,1] op_sel_hi:[1,0,0]
	v_mov_b32_e32 v130, v19
	s_waitcnt vmcnt(0)
	v_mov_b32_e32 v128, v31
	s_waitcnt lgkmcnt(0)
	v_pk_mul_f32 v[20:21], v[22:23], v[126:127] op_sel_hi:[1,0]
	v_pk_mul_f32 v[64:65], v[24:25], v[28:29] op_sel:[0,1]
	v_pk_fma_f32 v[56:57], v[22:23], v[6:7], v[20:21] op_sel:[0,0,1] op_sel_hi:[1,1,0] neg_lo:[0,0,1] neg_hi:[0,0,1]
	v_pk_fma_f32 v[58:59], v[22:23], v[6:7], v[20:21] op_sel:[0,0,1] op_sel_hi:[1,0,0]
	ds_read2_b64 v[20:23], v131 offset0:92 offset1:217
	v_pk_fma_f32 v[66:67], v[24:25], v[28:29], v[64:65] op_sel:[0,0,1] op_sel_hi:[1,1,0] neg_lo:[0,0,1] neg_hi:[0,0,1]
	v_pk_fma_f32 v[64:65], v[24:25], v[28:29], v[64:65] op_sel:[0,0,1] op_sel_hi:[1,0,0]
	v_mov_b32_e32 v55, v27
	v_mov_b32_e32 v67, v65
	s_waitcnt lgkmcnt(0)
	v_pk_mul_f32 v[24:25], v[22:23], v[130:131] op_sel_hi:[1,0]
	v_pk_mul_f32 v[74:75], v[20:21], v[128:129] op_sel_hi:[1,0]
	v_pk_fma_f32 v[68:69], v[22:23], v[18:19], v[24:25] op_sel:[0,0,1] op_sel_hi:[1,1,0] neg_lo:[0,0,1] neg_hi:[0,0,1]
	v_pk_fma_f32 v[70:71], v[22:23], v[18:19], v[24:25] op_sel:[0,0,1] op_sel_hi:[1,0,0]
	ds_read2_b64 v[22:25], v139 offset0:122 offset1:247
	v_pk_fma_f32 v[76:77], v[20:21], v[30:31], v[74:75] op_sel:[0,0,1] op_sel_hi:[1,1,0] neg_lo:[0,0,1] neg_hi:[0,0,1]
	v_pk_fma_f32 v[20:21], v[20:21], v[30:31], v[74:75] op_sel:[0,0,1] op_sel_hi:[1,0,0]
	v_mul_u32_u24_e32 v7, 25, v80
	v_mov_b32_e32 v77, v21
	s_waitcnt lgkmcnt(0)
	v_pk_mul_f32 v[74:75], v[24:25], v[12:13] op_sel:[0,1]
	v_pk_add_f32 v[64:65], v[76:77], v[66:67] neg_lo:[0,1] neg_hi:[0,1]
	v_pk_fma_f32 v[78:79], v[24:25], v[12:13], v[74:75] op_sel:[0,0,1] op_sel_hi:[1,1,0] neg_lo:[0,0,1] neg_hi:[0,0,1]
	v_pk_fma_f32 v[24:25], v[24:25], v[12:13], v[74:75] op_sel:[0,0,1] op_sel_hi:[1,0,0]
	v_add_u32_sdwa v7, v7, v134 dst_sel:DWORD dst_unused:UNUSED_PAD src0_sel:DWORD src1_sel:BYTE_0
	v_mov_b32_e32 v79, v25
	ds_read2_b64 v[24:27], v125 offset1:125
	v_pk_add_f32 v[20:21], v[78:79], v[54:55] neg_lo:[0,1] neg_hi:[0,1]
	v_pk_add_f32 v[74:75], v[78:79], v[76:77] neg_lo:[0,1] neg_hi:[0,1]
	v_pk_add_f32 v[20:21], v[20:21], v[64:65]
	v_pk_add_f32 v[64:65], v[54:55], v[66:67]
	v_pk_mul_f32 v[82:83], v[74:75], s[2:3] op_sel_hi:[1,0]
	s_waitcnt lgkmcnt(0)
	v_pk_fma_f32 v[64:65], v[64:65], 0.5, v[24:25] op_sel_hi:[1,0,1] neg_lo:[1,0,0] neg_hi:[1,0,0]
	v_lshl_add_u32 v7, v7, 3, v62
	v_pk_add_f32 v[142:143], v[64:65], v[82:83] op_sel:[0,1] op_sel_hi:[1,0]
	v_pk_add_f32 v[64:65], v[64:65], v[82:83] op_sel:[0,1] op_sel_hi:[1,0] neg_lo:[0,1] neg_hi:[0,1]
	v_pk_add_f32 v[82:83], v[54:55], v[66:67] neg_lo:[0,1] neg_hi:[0,1]
	v_mov_b32_e32 v39, v41
	v_pk_mul_f32 v[144:145], v[82:83], s[6:7] op_sel_hi:[1,0]
	v_mov_b32_e32 v51, v53
	v_pk_add_f32 v[64:65], v[64:65], v[144:145] op_sel:[0,1] op_sel_hi:[1,0] neg_lo:[0,1] neg_hi:[0,1]
	v_pk_add_f32 v[142:143], v[142:143], v[144:145] op_sel:[0,1] op_sel_hi:[1,0]
	v_pk_add_f32 v[144:145], v[24:25], v[78:79]
	v_mov_b32_e32 v148, v142
	v_pk_add_f32 v[144:145], v[144:145], v[54:55]
	v_pk_add_f32 v[54:55], v[54:55], v[78:79] neg_lo:[0,1] neg_hi:[0,1]
	v_pk_add_f32 v[144:145], v[144:145], v[66:67]
	v_pk_add_f32 v[78:79], v[78:79], v[76:77]
	v_pk_add_f32 v[66:67], v[66:67], v[76:77] neg_lo:[0,1] neg_hi:[0,1]
	v_pk_fma_f32 v[24:25], v[78:79], 0.5, v[24:25] op_sel_hi:[1,0,1] neg_lo:[1,0,0] neg_hi:[1,0,0]
	v_pk_add_f32 v[54:55], v[54:55], v[66:67]
	v_pk_mul_f32 v[66:67], v[82:83], s[2:3] op_sel_hi:[1,0]
	v_pk_add_f32 v[144:145], v[144:145], v[76:77]
	v_pk_add_f32 v[76:77], v[24:25], v[66:67] op_sel:[0,1] op_sel_hi:[1,0] neg_lo:[0,1] neg_hi:[0,1]
	v_pk_add_f32 v[24:25], v[24:25], v[66:67] op_sel:[0,1] op_sel_hi:[1,0]
	v_pk_mul_f32 v[66:67], v[74:75], s[6:7] op_sel_hi:[1,0]
	v_mov_b32_e32 v149, v65
	v_pk_add_f32 v[24:25], v[24:25], v[66:67] op_sel:[0,1] op_sel_hi:[1,0] neg_lo:[0,1] neg_hi:[0,1]
	v_pk_add_f32 v[66:67], v[76:77], v[66:67] op_sel:[0,1] op_sel_hi:[1,0]
	v_mov_b32_e32 v75, v25
	v_mov_b32_e32 v74, v66
	;; [unrolled: 1-line block ×4, first 2 shown]
	v_pk_fma_f32 v[148:149], v[20:21], s[8:9], v[148:149] op_sel_hi:[1,0,1]
	v_pk_fma_f32 v[66:67], v[54:55], s[8:9], v[74:75] op_sel_hi:[1,0,1]
	;; [unrolled: 1-line block ×3, first 2 shown]
	v_mov_b32_e32 v47, v49
	v_mov_b32_e32 v69, v71
	v_pk_fma_f32 v[20:21], v[20:21], s[8:9], v[64:65] op_sel_hi:[1,0,1]
	s_barrier
	ds_write2_b64 v7, v[66:67], v[24:25] offset0:10 offset1:15
	ds_write_b64 v7, v[20:21] offset:160
	v_pk_add_f32 v[20:21], v[38:39], v[50:51] neg_lo:[0,1] neg_hi:[0,1]
	v_pk_add_f32 v[24:25], v[68:69], v[46:47] neg_lo:[0,1] neg_hi:[0,1]
	;; [unrolled: 1-line block ×3, first 2 shown]
	v_pk_add_f32 v[20:21], v[20:21], v[24:25]
	v_pk_add_f32 v[24:25], v[50:51], v[46:47]
	v_pk_mul_f32 v[48:49], v[40:41], s[2:3] op_sel_hi:[1,0]
	v_pk_fma_f32 v[24:25], v[24:25], 0.5, v[26:27] op_sel_hi:[1,0,1] neg_lo:[1,0,0] neg_hi:[1,0,0]
	v_lshl_add_u32 v143, v33, 3, v62
	v_pk_add_f32 v[52:53], v[24:25], v[48:49] op_sel:[0,1] op_sel_hi:[1,0]
	v_pk_add_f32 v[24:25], v[24:25], v[48:49] op_sel:[0,1] op_sel_hi:[1,0] neg_lo:[0,1] neg_hi:[0,1]
	v_pk_add_f32 v[48:49], v[50:51], v[46:47] neg_lo:[0,1] neg_hi:[0,1]
	ds_write2_b64 v7, v[144:145], v[148:149] offset1:5
	v_pk_mul_f32 v[54:55], v[48:49], s[6:7] op_sel_hi:[1,0]
	v_pk_mul_f32 v[40:41], v[40:41], s[6:7] op_sel_hi:[1,0]
	v_pk_add_f32 v[24:25], v[24:25], v[54:55] op_sel:[0,1] op_sel_hi:[1,0] neg_lo:[0,1] neg_hi:[0,1]
	v_pk_add_f32 v[52:53], v[52:53], v[54:55] op_sel:[0,1] op_sel_hi:[1,0]
	v_pk_add_f32 v[54:55], v[26:27], v[38:39]
	v_mov_b32_e32 v64, v52
	v_pk_add_f32 v[54:55], v[54:55], v[50:51]
	v_mov_b32_e32 v65, v25
	v_pk_add_f32 v[54:55], v[54:55], v[46:47]
	v_pk_fma_f32 v[64:65], v[20:21], s[8:9], v[64:65] op_sel_hi:[1,0,1]
	v_pk_add_f32 v[54:55], v[54:55], v[68:69]
	ds_write2_b64 v143, v[54:55], v[64:65] offset1:5
	v_pk_add_f32 v[54:55], v[38:39], v[68:69]
	v_pk_add_f32 v[38:39], v[50:51], v[38:39] neg_lo:[0,1] neg_hi:[0,1]
	v_pk_add_f32 v[46:47], v[46:47], v[68:69] neg_lo:[0,1] neg_hi:[0,1]
	v_pk_fma_f32 v[26:27], v[54:55], 0.5, v[26:27] op_sel_hi:[1,0,1] neg_lo:[1,0,0] neg_hi:[1,0,0]
	v_pk_add_f32 v[38:39], v[38:39], v[46:47]
	v_pk_mul_f32 v[46:47], v[48:49], s[2:3] op_sel_hi:[1,0]
	v_mov_b32_e32 v150, v11
	v_pk_add_f32 v[48:49], v[26:27], v[46:47] op_sel:[0,1] op_sel_hi:[1,0] neg_lo:[0,1] neg_hi:[0,1]
	v_pk_add_f32 v[26:27], v[26:27], v[46:47] op_sel:[0,1] op_sel_hi:[1,0]
	v_mov_b32_e32 v25, v53
	v_pk_add_f32 v[26:27], v[26:27], v[40:41] op_sel:[0,1] op_sel_hi:[1,0] neg_lo:[0,1] neg_hi:[0,1]
	v_pk_add_f32 v[40:41], v[48:49], v[40:41] op_sel:[0,1] op_sel_hi:[1,0]
	v_mov_b32_e32 v47, v27
	v_mov_b32_e32 v46, v40
	;; [unrolled: 1-line block ×3, first 2 shown]
	v_pk_fma_f32 v[40:41], v[38:39], s[8:9], v[46:47] op_sel_hi:[1,0,1]
	v_pk_fma_f32 v[26:27], v[38:39], s[8:9], v[26:27] op_sel_hi:[1,0,1]
	ds_write2_b64 v143, v[40:41], v[26:27] offset0:10 offset1:15
	v_pk_mul_f32 v[26:27], v[146:147], v[150:151] op_sel_hi:[1,0]
	v_pk_fma_f32 v[20:21], v[20:21], s[8:9], v[24:25] op_sel_hi:[1,0,1]
	v_mov_b32_e32 v37, v35
	v_mov_b32_e32 v57, v59
	;; [unrolled: 1-line block ×3, first 2 shown]
	v_pk_fma_f32 v[34:35], v[146:147], v[10:11], v[26:27] op_sel:[0,0,1] op_sel_hi:[1,1,0] neg_lo:[0,0,1] neg_hi:[0,0,1]
	v_pk_fma_f32 v[26:27], v[146:147], v[10:11], v[26:27] op_sel:[0,0,1] op_sel_hi:[1,0,0]
	ds_write_b64 v143, v[20:21] offset:160
	v_mad_legacy_u16 v20, v61, 25, v63
	v_mov_b32_e32 v35, v27
	v_lshl_add_u32 v145, v20, 3, v62
	v_pk_add_f32 v[20:21], v[56:57], v[42:43]
	v_pk_add_f32 v[26:27], v[36:37], v[56:57] neg_lo:[0,1] neg_hi:[0,1]
	v_pk_add_f32 v[38:39], v[34:35], v[42:43] neg_lo:[0,1] neg_hi:[0,1]
	v_pk_fma_f32 v[20:21], v[20:21], 0.5, v[22:23] op_sel_hi:[1,0,1] neg_lo:[1,0,0] neg_hi:[1,0,0]
	v_pk_add_f32 v[24:25], v[36:37], v[34:35] neg_lo:[0,1] neg_hi:[0,1]
	v_pk_add_f32 v[26:27], v[26:27], v[38:39]
	v_pk_fma_f32 v[38:39], v[24:25], s[2:3], v[20:21] op_sel:[1,0,0] op_sel_hi:[0,0,1] neg_lo:[1,0,0] neg_hi:[1,0,0]
	v_pk_fma_f32 v[20:21], v[24:25], s[2:3], v[20:21] op_sel:[1,0,0] op_sel_hi:[0,0,1]
	v_pk_add_f32 v[40:41], v[56:57], v[42:43] neg_lo:[0,1] neg_hi:[0,1]
	v_pk_add_f32 v[44:45], v[22:23], v[36:37]
	v_pk_fma_f32 v[20:21], v[40:41], s[6:7], v[20:21] op_sel:[1,0,0] op_sel_hi:[0,0,1]
	v_pk_fma_f32 v[38:39], v[40:41], s[6:7], v[38:39] op_sel:[1,0,0] op_sel_hi:[0,0,1] neg_lo:[1,0,0] neg_hi:[1,0,0]
	v_pk_add_f32 v[44:45], v[44:45], v[56:57]
	v_mov_b32_e32 v47, v21
	v_pk_add_f32 v[44:45], v[44:45], v[42:43]
	v_mov_b32_e32 v21, v39
	v_pk_add_f32 v[44:45], v[44:45], v[34:35]
	v_pk_fma_f32 v[20:21], v[26:27], s[8:9], v[20:21] op_sel_hi:[1,0,1]
	ds_write2_b64 v145, v[44:45], v[20:21] offset1:5
	v_pk_add_f32 v[20:21], v[36:37], v[34:35]
	v_pk_add_f32 v[34:35], v[42:43], v[34:35] neg_lo:[0,1] neg_hi:[0,1]
	v_pk_fma_f32 v[20:21], v[20:21], 0.5, v[22:23] op_sel_hi:[1,0,1] neg_lo:[1,0,0] neg_hi:[1,0,0]
	v_pk_add_f32 v[22:23], v[56:57], v[36:37] neg_lo:[0,1] neg_hi:[0,1]
	v_mov_b32_e32 v46, v38
	v_pk_add_f32 v[22:23], v[22:23], v[34:35]
	v_pk_fma_f32 v[34:35], v[40:41], s[2:3], v[20:21] op_sel:[1,0,0] op_sel_hi:[0,0,1]
	v_pk_fma_f32 v[20:21], v[40:41], s[2:3], v[20:21] op_sel:[1,0,0] op_sel_hi:[0,0,1] neg_lo:[1,0,0] neg_hi:[1,0,0]
	v_pk_fma_f32 v[20:21], v[24:25], s[6:7], v[20:21] op_sel:[1,0,0] op_sel_hi:[0,0,1]
	v_pk_fma_f32 v[24:25], v[24:25], s[6:7], v[34:35] op_sel:[1,0,0] op_sel_hi:[0,0,1] neg_lo:[1,0,0] neg_hi:[1,0,0]
	v_mov_b32_e32 v34, v24
	v_mov_b32_e32 v35, v21
	v_mov_b32_e32 v21, v25
	v_pk_fma_f32 v[24:25], v[22:23], s[8:9], v[34:35] op_sel_hi:[1,0,1]
	v_pk_fma_f32 v[20:21], v[22:23], s[8:9], v[20:21] op_sel_hi:[1,0,1]
	ds_write2_b64 v145, v[20:21], v[24:25] offset0:10 offset1:15
	v_pk_fma_f32 v[20:21], v[26:27], s[8:9], v[46:47] op_sel_hi:[1,0,1]
	s_movk_i32 s7, 0x47af
	ds_write_b64 v145, v[20:21] offset:160
	v_mul_u32_u24_sdwa v20, v72, s7 dst_sel:DWORD dst_unused:UNUSED_PAD src0_sel:WORD_0 src1_sel:DWORD
	v_sub_u16_sdwa v21, v72, v20 dst_sel:DWORD dst_unused:UNUSED_PAD src0_sel:DWORD src1_sel:WORD_1
	v_lshrrev_b16_e32 v21, 1, v21
	v_add_u16_sdwa v20, v21, v20 dst_sel:DWORD dst_unused:UNUSED_PAD src0_sel:DWORD src1_sel:WORD_1
	v_lshrrev_b16_e32 v63, 4, v20
	v_mul_lo_u16_e32 v20, 25, v63
	v_mov_b32_e32 v33, 41
	v_sub_u16_e32 v73, v72, v20
	v_mul_lo_u16_sdwa v21, v60, v33 dst_sel:DWORD dst_unused:UNUSED_PAD src0_sel:BYTE_0 src1_sel:DWORD
	v_lshlrev_b16_e32 v80, 5, v73
	v_lshrrev_b16_e32 v61, 10, v21
	v_lshl_add_u64 v[34:35], s[10:11], 0, v[80:81]
	s_waitcnt lgkmcnt(0)
	s_barrier
	global_load_dwordx4 v[20:23], v[34:35], off offset:160
	v_mul_lo_u16_e32 v24, 25, v61
	v_sub_u16_e32 v80, v60, v24
	v_lshlrev_b32_sdwa v36, v32, v80 dst_sel:DWORD dst_unused:UNUSED_PAD src0_sel:DWORD src1_sel:BYTE_0
	global_load_dwordx4 v[24:27], v36, s[10:11] offset:160
	global_load_dwordx4 v[48:51], v[34:35], off offset:176
	global_load_dwordx4 v[40:43], v36, s[10:11] offset:176
	v_mul_lo_u16_sdwa v33, v110, v33 dst_sel:DWORD dst_unused:UNUSED_PAD src0_sel:BYTE_0 src1_sel:DWORD
	v_lshrrev_b16_e32 v142, 10, v33
	v_mul_lo_u16_e32 v33, 25, v142
	v_sub_u16_e32 v151, v110, v33
	v_lshlrev_b32_sdwa v36, v32, v151 dst_sel:DWORD dst_unused:UNUSED_PAD src0_sel:DWORD src1_sel:BYTE_0
	global_load_dwordx4 v[32:35], v36, s[10:11] offset:160
	global_load_dwordx4 v[52:55], v36, s[10:11] offset:176
	ds_read2_b64 v[36:39], v129 offset0:116 offset1:241
	ds_read2_b64 v[44:47], v127 offset0:98 offset1:223
	ds_read_b64 v[174:175], v125 offset:14000
	s_waitcnt vmcnt(5) lgkmcnt(2)
	v_pk_mul_f32 v[56:57], v[38:39], v[20:21] op_sel:[0,1]
	s_nop 0
	v_pk_fma_f32 v[58:59], v[38:39], v[20:21], v[56:57] op_sel:[0,0,1] op_sel_hi:[1,1,0] neg_lo:[0,0,1] neg_hi:[0,0,1]
	v_pk_fma_f32 v[56:57], v[38:39], v[20:21], v[56:57] op_sel:[0,0,1] op_sel_hi:[1,0,0]
	s_waitcnt vmcnt(4)
	v_pk_mul_f32 v[38:39], v[36:37], v[24:25] op_sel:[0,1]
	v_mov_b32_e32 v136, v27
	v_pk_fma_f32 v[64:65], v[36:37], v[24:25], v[38:39] op_sel:[0,0,1] op_sel_hi:[1,1,0] neg_lo:[0,0,1] neg_hi:[0,0,1]
	v_pk_fma_f32 v[66:67], v[36:37], v[24:25], v[38:39] op_sel:[0,0,1] op_sel_hi:[1,0,0]
	s_waitcnt vmcnt(3) lgkmcnt(1)
	v_pk_mul_f32 v[36:37], v[46:47], v[48:49] op_sel:[0,1]
	v_mov_b32_e32 v138, v23
	v_pk_fma_f32 v[68:69], v[46:47], v[48:49], v[36:37] op_sel:[0,0,1] op_sel_hi:[1,1,0] neg_lo:[0,0,1] neg_hi:[0,0,1]
	v_pk_fma_f32 v[70:71], v[46:47], v[48:49], v[36:37] op_sel:[0,0,1] op_sel_hi:[1,0,0]
	ds_read2_b64 v[36:39], v135 offset0:110 offset1:235
	s_waitcnt vmcnt(2)
	v_pk_mul_f32 v[46:47], v[44:45], v[40:41] op_sel:[0,1]
	s_waitcnt vmcnt(1)
	v_mov_b32_e32 v134, v35
	v_pk_fma_f32 v[74:75], v[44:45], v[40:41], v[46:47] op_sel:[0,0,1] op_sel_hi:[1,1,0] neg_lo:[0,0,1] neg_hi:[0,0,1]
	v_pk_fma_f32 v[76:77], v[44:45], v[40:41], v[46:47] op_sel:[0,0,1] op_sel_hi:[1,0,0]
	s_waitcnt lgkmcnt(0)
	v_pk_mul_f32 v[44:45], v[38:39], v[136:137] op_sel_hi:[1,0]
	v_mov_b32_e32 v144, v43
	v_pk_fma_f32 v[78:79], v[38:39], v[26:27], v[44:45] op_sel:[0,0,1] op_sel_hi:[1,1,0] neg_lo:[0,0,1] neg_hi:[0,0,1]
	v_pk_fma_f32 v[82:83], v[38:39], v[26:27], v[44:45] op_sel:[0,0,1] op_sel_hi:[1,0,0]
	ds_read2_b64 v[44:47], v137 offset0:104 offset1:229
	v_pk_mul_f32 v[38:39], v[36:37], v[134:135] op_sel_hi:[1,0]
	s_waitcnt vmcnt(0)
	v_mov_b32_e32 v140, v55
	v_pk_fma_f32 v[146:147], v[36:37], v[34:35], v[38:39] op_sel:[0,0,1] op_sel_hi:[1,1,0] neg_lo:[0,0,1] neg_hi:[0,0,1]
	v_pk_fma_f32 v[148:149], v[36:37], v[34:35], v[38:39] op_sel:[0,0,1] op_sel_hi:[1,0,0]
	s_waitcnt lgkmcnt(0)
	v_pk_mul_f32 v[36:37], v[44:45], v[138:139] op_sel_hi:[1,0]
	v_mov_b32_e32 v147, v149
	v_pk_fma_f32 v[152:153], v[44:45], v[22:23], v[36:37] op_sel:[0,0,1] op_sel_hi:[1,1,0] neg_lo:[0,0,1] neg_hi:[0,0,1]
	v_pk_fma_f32 v[154:155], v[44:45], v[22:23], v[36:37] op_sel:[0,0,1] op_sel_hi:[1,0,0]
	ds_read2_b64 v[36:39], v131 offset0:92 offset1:217
	v_pk_mul_f32 v[44:45], v[46:47], v[52:53] op_sel:[0,1]
	v_mul_u32_u24_e32 v23, 0x7d, v142
	v_pk_fma_f32 v[156:157], v[46:47], v[52:53], v[44:45] op_sel:[0,0,1] op_sel_hi:[1,1,0] neg_lo:[0,0,1] neg_hi:[0,0,1]
	v_pk_fma_f32 v[158:159], v[46:47], v[52:53], v[44:45] op_sel:[0,0,1] op_sel_hi:[1,0,0]
	s_waitcnt lgkmcnt(0)
	v_pk_mul_f32 v[44:45], v[38:39], v[144:145] op_sel_hi:[1,0]
	v_mov_b32_e32 v157, v159
	v_pk_fma_f32 v[160:161], v[38:39], v[42:43], v[44:45] op_sel:[0,0,1] op_sel_hi:[1,1,0] neg_lo:[0,0,1] neg_hi:[0,0,1]
	v_pk_fma_f32 v[162:163], v[38:39], v[42:43], v[44:45] op_sel:[0,0,1] op_sel_hi:[1,0,0]
	ds_read2_b64 v[44:47], v139 offset0:122 offset1:247
	v_pk_mul_f32 v[38:39], v[36:37], v[140:141] op_sel_hi:[1,0]
	v_add_u32_sdwa v23, v23, v151 dst_sel:DWORD dst_unused:UNUSED_PAD src0_sel:DWORD src1_sel:BYTE_0
	v_pk_fma_f32 v[164:165], v[36:37], v[54:55], v[38:39] op_sel:[0,0,1] op_sel_hi:[1,1,0] neg_lo:[0,0,1] neg_hi:[0,0,1]
	v_pk_fma_f32 v[36:37], v[36:37], v[54:55], v[38:39] op_sel:[0,0,1] op_sel_hi:[1,0,0]
	s_waitcnt lgkmcnt(0)
	v_pk_mul_f32 v[38:39], v[46:47], v[32:33] op_sel:[0,1]
	v_mov_b32_e32 v165, v37
	v_pk_fma_f32 v[166:167], v[46:47], v[32:33], v[38:39] op_sel:[0,0,1] op_sel_hi:[1,1,0] neg_lo:[0,0,1] neg_hi:[0,0,1]
	v_pk_fma_f32 v[38:39], v[46:47], v[32:33], v[38:39] op_sel:[0,0,1] op_sel_hi:[1,0,0]
	v_pk_add_f32 v[148:149], v[164:165], v[156:157] neg_lo:[0,1] neg_hi:[0,1]
	v_mov_b32_e32 v167, v39
	ds_read2_b64 v[36:39], v125 offset1:125
	v_pk_add_f32 v[46:47], v[166:167], v[146:147] neg_lo:[0,1] neg_hi:[0,1]
	v_pk_add_f32 v[158:159], v[166:167], v[164:165] neg_lo:[0,1] neg_hi:[0,1]
	v_pk_add_f32 v[46:47], v[46:47], v[148:149]
	v_pk_add_f32 v[148:149], v[146:147], v[156:157]
	v_pk_mul_f32 v[168:169], v[158:159], s[2:3] op_sel_hi:[1,0]
	s_waitcnt lgkmcnt(0)
	v_pk_fma_f32 v[148:149], v[148:149], 0.5, v[36:37] op_sel_hi:[1,0,1] neg_lo:[1,0,0] neg_hi:[1,0,0]
	v_lshl_add_u32 v23, v23, 3, v62
	v_pk_add_f32 v[170:171], v[148:149], v[168:169] op_sel:[0,1] op_sel_hi:[1,0]
	v_pk_add_f32 v[148:149], v[148:149], v[168:169] op_sel:[0,1] op_sel_hi:[1,0] neg_lo:[0,1] neg_hi:[0,1]
	v_pk_add_f32 v[168:169], v[146:147], v[156:157] neg_lo:[0,1] neg_hi:[0,1]
	s_nop 0
	v_pk_mul_f32 v[172:173], v[168:169], s[6:7] op_sel_hi:[1,0]
	s_barrier
	v_pk_add_f32 v[148:149], v[148:149], v[172:173] op_sel:[0,1] op_sel_hi:[1,0] neg_lo:[0,1] neg_hi:[0,1]
	v_pk_add_f32 v[170:171], v[170:171], v[172:173] op_sel:[0,1] op_sel_hi:[1,0]
	v_pk_add_f32 v[172:173], v[36:37], v[166:167]
	v_mov_b32_e32 v177, v149
	v_pk_add_f32 v[172:173], v[172:173], v[146:147]
	v_pk_add_f32 v[146:147], v[146:147], v[166:167] neg_lo:[0,1] neg_hi:[0,1]
	v_pk_add_f32 v[172:173], v[172:173], v[156:157]
	v_pk_add_f32 v[166:167], v[166:167], v[164:165]
	v_pk_add_f32 v[156:157], v[156:157], v[164:165] neg_lo:[0,1] neg_hi:[0,1]
	v_pk_fma_f32 v[36:37], v[166:167], 0.5, v[36:37] op_sel_hi:[1,0,1] neg_lo:[1,0,0] neg_hi:[1,0,0]
	v_pk_add_f32 v[146:147], v[146:147], v[156:157]
	v_pk_mul_f32 v[156:157], v[168:169], s[2:3] op_sel_hi:[1,0]
	v_pk_add_f32 v[172:173], v[172:173], v[164:165]
	v_pk_add_f32 v[164:165], v[36:37], v[156:157] op_sel:[0,1] op_sel_hi:[1,0] neg_lo:[0,1] neg_hi:[0,1]
	v_pk_add_f32 v[36:37], v[36:37], v[156:157] op_sel:[0,1] op_sel_hi:[1,0]
	v_pk_mul_f32 v[156:157], v[158:159], s[6:7] op_sel_hi:[1,0]
	v_mov_b32_e32 v149, v171
	v_pk_add_f32 v[36:37], v[36:37], v[156:157] op_sel:[0,1] op_sel_hi:[1,0] neg_lo:[0,1] neg_hi:[0,1]
	v_pk_add_f32 v[156:157], v[164:165], v[156:157] op_sel:[0,1] op_sel_hi:[1,0]
	v_mov_b32_e32 v159, v37
	v_mov_b32_e32 v158, v156
	;; [unrolled: 1-line block ×3, first 2 shown]
	v_pk_fma_f32 v[156:157], v[146:147], s[8:9], v[158:159] op_sel_hi:[1,0,1]
	v_pk_fma_f32 v[36:37], v[146:147], s[8:9], v[36:37] op_sel_hi:[1,0,1]
	v_mov_b32_e32 v176, v170
	ds_write2_b64 v23, v[156:157], v[36:37] offset0:50 offset1:75
	v_mov_b32_e32 v65, v67
	v_mov_b32_e32 v79, v83
	;; [unrolled: 1-line block ×4, first 2 shown]
	v_pk_fma_f32 v[36:37], v[46:47], s[8:9], v[148:149] op_sel_hi:[1,0,1]
	v_pk_fma_f32 v[176:177], v[46:47], s[8:9], v[176:177] op_sel_hi:[1,0,1]
	ds_write_b64 v23, v[36:37] offset:800
	v_pk_add_f32 v[36:37], v[64:65], v[78:79] neg_lo:[0,1] neg_hi:[0,1]
	v_pk_add_f32 v[46:47], v[160:161], v[74:75] neg_lo:[0,1] neg_hi:[0,1]
	;; [unrolled: 1-line block ×3, first 2 shown]
	v_pk_add_f32 v[36:37], v[36:37], v[46:47]
	v_pk_add_f32 v[46:47], v[78:79], v[74:75]
	v_pk_mul_f32 v[76:77], v[66:67], s[2:3] op_sel_hi:[1,0]
	v_pk_fma_f32 v[46:47], v[46:47], 0.5, v[38:39] op_sel_hi:[1,0,1] neg_lo:[1,0,0] neg_hi:[1,0,0]
	v_pk_add_f32 v[148:149], v[38:39], v[64:65]
	v_pk_add_f32 v[82:83], v[46:47], v[76:77] op_sel:[0,1] op_sel_hi:[1,0]
	v_pk_add_f32 v[46:47], v[46:47], v[76:77] op_sel:[0,1] op_sel_hi:[1,0] neg_lo:[0,1] neg_hi:[0,1]
	v_pk_add_f32 v[76:77], v[78:79], v[74:75] neg_lo:[0,1] neg_hi:[0,1]
	v_mul_u32_u24_e32 v56, 0x7d, v61
	v_pk_mul_f32 v[146:147], v[76:77], s[6:7] op_sel_hi:[1,0]
	v_pk_add_f32 v[148:149], v[148:149], v[78:79]
	v_pk_add_f32 v[46:47], v[46:47], v[146:147] op_sel:[0,1] op_sel_hi:[1,0] neg_lo:[0,1] neg_hi:[0,1]
	v_pk_add_f32 v[82:83], v[82:83], v[146:147] op_sel:[0,1] op_sel_hi:[1,0]
	v_add_u32_sdwa v56, v56, v80 dst_sel:DWORD dst_unused:UNUSED_PAD src0_sel:DWORD src1_sel:BYTE_0
	v_pk_add_f32 v[148:149], v[148:149], v[74:75]
	v_mov_b32_e32 v156, v82
	v_mov_b32_e32 v157, v47
	v_lshl_add_u32 v147, v56, 3, v62
	v_pk_add_f32 v[148:149], v[148:149], v[160:161]
	v_pk_fma_f32 v[156:157], v[36:37], s[8:9], v[156:157] op_sel_hi:[1,0,1]
	ds_write2_b64 v23, v[172:173], v[176:177] offset1:25
	ds_write2_b64 v147, v[148:149], v[156:157] offset1:25
	v_pk_add_f32 v[148:149], v[64:65], v[160:161]
	v_pk_add_f32 v[64:65], v[78:79], v[64:65] neg_lo:[0,1] neg_hi:[0,1]
	v_pk_add_f32 v[74:75], v[74:75], v[160:161] neg_lo:[0,1] neg_hi:[0,1]
	v_pk_fma_f32 v[38:39], v[148:149], 0.5, v[38:39] op_sel_hi:[1,0,1] neg_lo:[1,0,0] neg_hi:[1,0,0]
	v_pk_add_f32 v[64:65], v[64:65], v[74:75]
	v_pk_mul_f32 v[74:75], v[76:77], s[2:3] op_sel_hi:[1,0]
	v_pk_mul_f32 v[66:67], v[66:67], s[6:7] op_sel_hi:[1,0]
	v_pk_add_f32 v[76:77], v[38:39], v[74:75] op_sel:[0,1] op_sel_hi:[1,0] neg_lo:[0,1] neg_hi:[0,1]
	v_pk_add_f32 v[38:39], v[38:39], v[74:75] op_sel:[0,1] op_sel_hi:[1,0]
	v_mov_b32_e32 v160, v51
	v_pk_add_f32 v[38:39], v[38:39], v[66:67] op_sel:[0,1] op_sel_hi:[1,0] neg_lo:[0,1] neg_hi:[0,1]
	v_pk_add_f32 v[66:67], v[76:77], v[66:67] op_sel:[0,1] op_sel_hi:[1,0]
	v_mov_b32_e32 v75, v39
	v_mov_b32_e32 v74, v66
	;; [unrolled: 1-line block ×3, first 2 shown]
	v_pk_fma_f32 v[66:67], v[64:65], s[8:9], v[74:75] op_sel_hi:[1,0,1]
	v_pk_fma_f32 v[38:39], v[64:65], s[8:9], v[38:39] op_sel_hi:[1,0,1]
	v_mov_b32_e32 v47, v83
	ds_write2_b64 v147, v[66:67], v[38:39] offset0:50 offset1:75
	v_pk_mul_f32 v[38:39], v[174:175], v[160:161] op_sel_hi:[1,0]
	v_pk_fma_f32 v[36:37], v[36:37], s[8:9], v[46:47] op_sel_hi:[1,0,1]
	s_movk_i32 s7, 0x7d
	v_mov_b32_e32 v59, v57
	v_mov_b32_e32 v153, v155
	;; [unrolled: 1-line block ×3, first 2 shown]
	v_pk_fma_f32 v[56:57], v[174:175], v[50:51], v[38:39] op_sel:[0,0,1] op_sel_hi:[1,1,0] neg_lo:[0,0,1] neg_hi:[0,0,1]
	v_pk_fma_f32 v[38:39], v[174:175], v[50:51], v[38:39] op_sel:[0,0,1] op_sel_hi:[1,0,0]
	ds_write_b64 v147, v[36:37] offset:800
	v_mad_legacy_u16 v36, v63, s7, v73
	v_mov_b32_e32 v57, v39
	v_lshl_add_u32 v149, v36, 3, v62
	v_pk_add_f32 v[36:37], v[152:153], v[68:69]
	v_pk_add_f32 v[38:39], v[58:59], v[152:153] neg_lo:[0,1] neg_hi:[0,1]
	v_pk_add_f32 v[64:65], v[56:57], v[68:69] neg_lo:[0,1] neg_hi:[0,1]
	v_pk_fma_f32 v[36:37], v[36:37], 0.5, v[44:45] op_sel_hi:[1,0,1] neg_lo:[1,0,0] neg_hi:[1,0,0]
	v_pk_add_f32 v[46:47], v[58:59], v[56:57] neg_lo:[0,1] neg_hi:[0,1]
	v_pk_add_f32 v[38:39], v[38:39], v[64:65]
	v_pk_fma_f32 v[64:65], v[46:47], s[2:3], v[36:37] op_sel:[1,0,0] op_sel_hi:[0,0,1] neg_lo:[1,0,0] neg_hi:[1,0,0]
	v_pk_fma_f32 v[36:37], v[46:47], s[2:3], v[36:37] op_sel:[1,0,0] op_sel_hi:[0,0,1]
	v_pk_add_f32 v[66:67], v[152:153], v[68:69] neg_lo:[0,1] neg_hi:[0,1]
	v_pk_add_f32 v[70:71], v[44:45], v[58:59]
	v_pk_fma_f32 v[36:37], v[66:67], s[6:7], v[36:37] op_sel:[1,0,0] op_sel_hi:[0,0,1]
	v_pk_fma_f32 v[64:65], v[66:67], s[6:7], v[64:65] op_sel:[1,0,0] op_sel_hi:[0,0,1] neg_lo:[1,0,0] neg_hi:[1,0,0]
	v_pk_add_f32 v[70:71], v[70:71], v[152:153]
	v_mov_b32_e32 v75, v37
	v_pk_add_f32 v[70:71], v[70:71], v[68:69]
	v_mov_b32_e32 v37, v65
	v_pk_add_f32 v[70:71], v[70:71], v[56:57]
	v_pk_fma_f32 v[36:37], v[38:39], s[8:9], v[36:37] op_sel_hi:[1,0,1]
	ds_write2_b64 v149, v[70:71], v[36:37] offset1:25
	v_pk_add_f32 v[36:37], v[58:59], v[56:57]
	v_pk_add_f32 v[56:57], v[68:69], v[56:57] neg_lo:[0,1] neg_hi:[0,1]
	v_pk_fma_f32 v[36:37], v[36:37], 0.5, v[44:45] op_sel_hi:[1,0,1] neg_lo:[1,0,0] neg_hi:[1,0,0]
	v_pk_add_f32 v[44:45], v[152:153], v[58:59] neg_lo:[0,1] neg_hi:[0,1]
	v_mov_b32_e32 v74, v64
	v_pk_add_f32 v[44:45], v[44:45], v[56:57]
	v_pk_fma_f32 v[56:57], v[66:67], s[2:3], v[36:37] op_sel:[1,0,0] op_sel_hi:[0,0,1]
	v_pk_fma_f32 v[36:37], v[66:67], s[2:3], v[36:37] op_sel:[1,0,0] op_sel_hi:[0,0,1] neg_lo:[1,0,0] neg_hi:[1,0,0]
	v_pk_fma_f32 v[36:37], v[46:47], s[6:7], v[36:37] op_sel:[1,0,0] op_sel_hi:[0,0,1]
	v_pk_fma_f32 v[46:47], v[46:47], s[6:7], v[56:57] op_sel:[1,0,0] op_sel_hi:[0,0,1] neg_lo:[1,0,0] neg_hi:[1,0,0]
	v_mov_b32_e32 v56, v46
	v_mov_b32_e32 v57, v37
	;; [unrolled: 1-line block ×3, first 2 shown]
	v_pk_fma_f32 v[46:47], v[44:45], s[8:9], v[56:57] op_sel_hi:[1,0,1]
	v_pk_fma_f32 v[36:37], v[44:45], s[8:9], v[36:37] op_sel_hi:[1,0,1]
	ds_write2_b64 v149, v[36:37], v[46:47] offset0:50 offset1:75
	v_pk_fma_f32 v[36:37], v[38:39], s[8:9], v[74:75] op_sel_hi:[1,0,1]
	s_movk_i32 s7, 0x625
	ds_write_b64 v149, v[36:37] offset:800
	v_mul_u32_u24_sdwa v36, v72, s7 dst_sel:DWORD dst_unused:UNUSED_PAD src0_sel:WORD_0 src1_sel:DWORD
	v_sub_u16_sdwa v37, v72, v36 dst_sel:DWORD dst_unused:UNUSED_PAD src0_sel:DWORD src1_sel:WORD_1
	v_lshrrev_b16_e32 v37, 1, v37
	v_add_u16_sdwa v36, v37, v36 dst_sel:DWORD dst_unused:UNUSED_PAD src0_sel:DWORD src1_sel:WORD_1
	v_lshrrev_b16_e32 v36, 6, v36
	v_lshlrev_b32_e32 v56, 5, v110
	s_waitcnt lgkmcnt(0)
	s_barrier
	v_mul_lo_u16_e32 v44, 0x7d, v36
	global_load_dwordx4 v[36:39], v56, s[10:11] offset:976
	v_sub_u16_e32 v61, v72, v44
	v_lshlrev_b16_e32 v80, 5, v61
	v_lshl_add_u64 v[64:65], s[10:11], 0, v[80:81]
	global_load_dwordx4 v[44:47], v[64:65], off offset:960
	s_nop 0
	global_load_dwordx4 v[56:59], v56, s[10:11] offset:960
	s_nop 0
	global_load_dwordx4 v[64:67], v[64:65], off offset:976
	ds_read2_b64 v[68:71], v137 offset0:104 offset1:229
	ds_read_b64 v[198:199], v125 offset:14000
	v_lshlrev_b32_e32 v80, 4, v60
	s_waitcnt vmcnt(3) lgkmcnt(1)
	v_pk_mul_f32 v[74:75], v[70:71], v[36:37] op_sel:[0,1]
	s_nop 0
	v_pk_fma_f32 v[78:79], v[70:71], v[36:37], v[74:75] op_sel:[0,0,1] op_sel_hi:[1,1,0] neg_lo:[0,0,1] neg_hi:[0,0,1]
	v_pk_fma_f32 v[82:83], v[70:71], v[36:37], v[74:75] op_sel:[0,0,1] op_sel_hi:[1,0,0]
	ds_read2_b64 v[74:77], v129 offset0:116 offset1:241
	s_waitcnt vmcnt(2)
	v_mov_b32_e32 v146, v47
	v_pk_mul_f32 v[70:71], v[68:69], v[146:147] op_sel_hi:[1,0]
	s_waitcnt vmcnt(1)
	v_mov_b32_e32 v142, v59
	v_pk_fma_f32 v[152:153], v[68:69], v[46:47], v[70:71] op_sel:[0,0,1] op_sel_hi:[1,1,0] neg_lo:[0,0,1] neg_hi:[0,0,1]
	v_pk_fma_f32 v[154:155], v[68:69], v[46:47], v[70:71] op_sel:[0,0,1] op_sel_hi:[1,0,0]
	s_waitcnt lgkmcnt(0)
	v_pk_mul_f32 v[68:69], v[76:77], v[44:45] op_sel:[0,1]
	v_mov_b32_e32 v148, v39
	v_pk_fma_f32 v[156:157], v[76:77], v[44:45], v[68:69] op_sel:[0,0,1] op_sel_hi:[1,1,0] neg_lo:[0,0,1] neg_hi:[0,0,1]
	v_pk_fma_f32 v[158:159], v[76:77], v[44:45], v[68:69] op_sel:[0,0,1] op_sel_hi:[1,0,0]
	ds_read2_b64 v[68:71], v135 offset0:110 offset1:235
	v_pk_mul_f32 v[76:77], v[74:75], v[56:57] op_sel:[0,1]
	v_mov_b32_e32 v79, v83
	v_pk_fma_f32 v[162:163], v[74:75], v[56:57], v[76:77] op_sel:[0,0,1] op_sel_hi:[1,1,0] neg_lo:[0,0,1] neg_hi:[0,0,1]
	v_pk_fma_f32 v[164:165], v[74:75], v[56:57], v[76:77] op_sel:[0,0,1] op_sel_hi:[1,0,0]
	ds_read2_b64 v[74:77], v127 offset0:98 offset1:223
	s_waitcnt lgkmcnt(1)
	v_pk_mul_f32 v[166:167], v[68:69], v[142:143] op_sel_hi:[1,0]
	v_mov_b32_e32 v163, v165
	v_pk_fma_f32 v[168:169], v[68:69], v[58:59], v[166:167] op_sel:[0,0,1] op_sel_hi:[1,1,0] neg_lo:[0,0,1] neg_hi:[0,0,1]
	v_pk_fma_f32 v[166:167], v[68:69], v[58:59], v[166:167] op_sel:[0,0,1] op_sel_hi:[1,0,0]
	v_pk_mul_f32 v[68:69], v[70:71], v[142:143] op_sel_hi:[1,0]
	v_mov_b32_e32 v169, v167
	v_pk_fma_f32 v[170:171], v[70:71], v[58:59], v[68:69] op_sel:[0,0,1] op_sel_hi:[1,1,0] neg_lo:[0,0,1] neg_hi:[0,0,1]
	v_pk_fma_f32 v[172:173], v[70:71], v[58:59], v[68:69] op_sel:[0,0,1] op_sel_hi:[1,0,0]
	s_waitcnt vmcnt(0) lgkmcnt(0)
	v_pk_mul_f32 v[68:69], v[76:77], v[64:65] op_sel:[0,1]
	v_mov_b32_e32 v171, v173
	v_pk_fma_f32 v[174:175], v[76:77], v[64:65], v[68:69] op_sel:[0,0,1] op_sel_hi:[1,1,0] neg_lo:[0,0,1] neg_hi:[0,0,1]
	v_pk_fma_f32 v[176:177], v[76:77], v[64:65], v[68:69] op_sel:[0,0,1] op_sel_hi:[1,0,0]
	ds_read2_b64 v[68:71], v131 offset0:92 offset1:217
	v_pk_mul_f32 v[76:77], v[74:75], v[36:37] op_sel:[0,1]
	v_mov_b32_e32 v157, v159
	v_pk_fma_f32 v[178:179], v[74:75], v[36:37], v[76:77] op_sel:[0,0,1] op_sel_hi:[1,1,0] neg_lo:[0,0,1] neg_hi:[0,0,1]
	v_pk_fma_f32 v[180:181], v[74:75], v[36:37], v[76:77] op_sel:[0,0,1] op_sel_hi:[1,0,0]
	ds_read2_b64 v[74:77], v139 offset0:122 offset1:247
	s_waitcnt lgkmcnt(1)
	v_pk_mul_f32 v[182:183], v[68:69], v[148:149] op_sel_hi:[1,0]
	v_mov_b32_e32 v179, v181
	v_pk_fma_f32 v[184:185], v[68:69], v[38:39], v[182:183] op_sel:[0,0,1] op_sel_hi:[1,1,0] neg_lo:[0,0,1] neg_hi:[0,0,1]
	v_pk_fma_f32 v[68:69], v[68:69], v[38:39], v[182:183] op_sel:[0,0,1] op_sel_hi:[1,0,0]
	v_pk_mul_f32 v[182:183], v[70:71], v[148:149] op_sel_hi:[1,0]
	v_mov_b32_e32 v185, v69
	v_pk_fma_f32 v[186:187], v[70:71], v[38:39], v[182:183] op_sel:[0,0,1] op_sel_hi:[1,1,0] neg_lo:[0,0,1] neg_hi:[0,0,1]
	v_pk_fma_f32 v[182:183], v[70:71], v[38:39], v[182:183] op_sel:[0,0,1] op_sel_hi:[1,0,0]
	s_waitcnt lgkmcnt(0)
	v_pk_mul_f32 v[70:71], v[76:77], v[56:57] op_sel:[0,1]
	v_pk_add_f32 v[82:83], v[184:185], v[78:79] neg_lo:[0,1] neg_hi:[0,1]
	v_pk_fma_f32 v[188:189], v[76:77], v[56:57], v[70:71] op_sel:[0,0,1] op_sel_hi:[1,1,0] neg_lo:[0,0,1] neg_hi:[0,0,1]
	v_pk_fma_f32 v[70:71], v[76:77], v[56:57], v[70:71] op_sel:[0,0,1] op_sel_hi:[1,0,0]
	v_mov_b32_e32 v187, v183
	v_mov_b32_e32 v189, v71
	ds_read2_b64 v[68:71], v125 offset1:125
	v_pk_add_f32 v[76:77], v[188:189], v[168:169] neg_lo:[0,1] neg_hi:[0,1]
	v_pk_add_f32 v[166:167], v[188:189], v[184:185] neg_lo:[0,1] neg_hi:[0,1]
	v_pk_add_f32 v[76:77], v[76:77], v[82:83]
	v_pk_add_f32 v[82:83], v[168:169], v[78:79]
	v_pk_mul_f32 v[190:191], v[166:167], s[2:3] op_sel_hi:[1,0]
	s_waitcnt lgkmcnt(0)
	v_pk_fma_f32 v[82:83], v[82:83], 0.5, v[68:69] op_sel_hi:[1,0,1] neg_lo:[1,0,0] neg_hi:[1,0,0]
	v_pk_mul_f32 v[166:167], v[166:167], s[6:7] op_sel_hi:[1,0]
	v_pk_add_f32 v[192:193], v[82:83], v[190:191] op_sel:[0,1] op_sel_hi:[1,0]
	v_pk_add_f32 v[82:83], v[82:83], v[190:191] op_sel:[0,1] op_sel_hi:[1,0] neg_lo:[0,1] neg_hi:[0,1]
	v_pk_add_f32 v[190:191], v[168:169], v[78:79] neg_lo:[0,1] neg_hi:[0,1]
	s_nop 0
	v_pk_mul_f32 v[194:195], v[190:191], s[6:7] op_sel_hi:[1,0]
	s_barrier
	v_pk_add_f32 v[82:83], v[82:83], v[194:195] op_sel:[0,1] op_sel_hi:[1,0] neg_lo:[0,1] neg_hi:[0,1]
	v_pk_add_f32 v[192:193], v[192:193], v[194:195] op_sel:[0,1] op_sel_hi:[1,0]
	v_pk_add_f32 v[194:195], v[68:69], v[188:189]
	v_mov_b32_e32 v196, v192
	v_pk_add_f32 v[194:195], v[194:195], v[168:169]
	v_pk_add_f32 v[168:169], v[168:169], v[188:189] neg_lo:[0,1] neg_hi:[0,1]
	v_pk_add_f32 v[194:195], v[194:195], v[78:79]
	v_pk_add_f32 v[188:189], v[188:189], v[184:185]
	v_pk_add_f32 v[78:79], v[78:79], v[184:185] neg_lo:[0,1] neg_hi:[0,1]
	v_pk_fma_f32 v[68:69], v[188:189], 0.5, v[68:69] op_sel_hi:[1,0,1] neg_lo:[1,0,0] neg_hi:[1,0,0]
	v_pk_add_f32 v[78:79], v[168:169], v[78:79]
	v_pk_mul_f32 v[168:169], v[190:191], s[2:3] op_sel_hi:[1,0]
	v_pk_add_f32 v[194:195], v[194:195], v[184:185]
	v_pk_add_f32 v[184:185], v[68:69], v[168:169] op_sel:[0,1] op_sel_hi:[1,0] neg_lo:[0,1] neg_hi:[0,1]
	v_pk_add_f32 v[68:69], v[68:69], v[168:169] op_sel:[0,1] op_sel_hi:[1,0]
	v_mov_b32_e32 v197, v83
	v_pk_add_f32 v[68:69], v[68:69], v[166:167] op_sel:[0,1] op_sel_hi:[1,0] neg_lo:[0,1] neg_hi:[0,1]
	v_pk_add_f32 v[166:167], v[184:185], v[166:167] op_sel:[0,1] op_sel_hi:[1,0]
	v_mov_b32_e32 v169, v69
	v_mov_b32_e32 v168, v166
	;; [unrolled: 1-line block ×3, first 2 shown]
	v_pk_fma_f32 v[166:167], v[78:79], s[8:9], v[168:169] op_sel_hi:[1,0,1]
	v_pk_fma_f32 v[68:69], v[78:79], s[8:9], v[68:69] op_sel_hi:[1,0,1]
	v_mov_b32_e32 v83, v193
	v_pk_fma_f32 v[196:197], v[76:77], s[8:9], v[196:197] op_sel_hi:[1,0,1]
	ds_write2_b64 v139, v[166:167], v[68:69] offset0:122 offset1:247
	v_pk_fma_f32 v[68:69], v[76:77], s[8:9], v[82:83] op_sel_hi:[1,0,1]
	v_pk_add_f32 v[76:77], v[70:71], v[162:163]
	v_pk_add_f32 v[78:79], v[186:187], v[178:179] neg_lo:[0,1] neg_hi:[0,1]
	v_pk_add_f32 v[76:77], v[76:77], v[170:171]
	v_pk_add_f32 v[82:83], v[170:171], v[162:163] neg_lo:[0,1] neg_hi:[0,1]
	;; [unrolled: 2-line block ×3, first 2 shown]
	v_pk_add_f32 v[76:77], v[76:77], v[186:187]
	ds_write2_b64 v129, v[68:69], v[76:77] offset0:116 offset1:241
	v_pk_add_f32 v[68:69], v[170:171], v[178:179]
	v_pk_add_f32 v[76:77], v[162:163], v[186:187]
	v_pk_fma_f32 v[68:69], v[68:69], 0.5, v[70:71] op_sel_hi:[1,0,1] neg_lo:[1,0,0] neg_hi:[1,0,0]
	v_pk_fma_f32 v[70:71], v[76:77], 0.5, v[70:71] op_sel_hi:[1,0,1] neg_lo:[1,0,0] neg_hi:[1,0,0]
	v_pk_add_f32 v[76:77], v[162:163], v[170:171] neg_lo:[0,1] neg_hi:[0,1]
	v_pk_add_f32 v[82:83], v[82:83], v[164:165]
	v_pk_add_f32 v[76:77], v[76:77], v[78:79]
	v_pk_add_f32 v[78:79], v[162:163], v[186:187] neg_lo:[0,1] neg_hi:[0,1]
	v_pk_add_f32 v[162:163], v[170:171], v[178:179] neg_lo:[0,1] neg_hi:[0,1]
	v_pk_fma_f32 v[164:165], v[78:79], s[2:3], v[68:69] op_sel:[1,0,0] op_sel_hi:[0,0,1] neg_lo:[1,0,0] neg_hi:[1,0,0]
	v_pk_fma_f32 v[68:69], v[78:79], s[2:3], v[68:69] op_sel:[1,0,0] op_sel_hi:[0,0,1]
	v_pk_fma_f32 v[166:167], v[162:163], s[2:3], v[70:71] op_sel:[1,0,0] op_sel_hi:[0,0,1]
	v_pk_fma_f32 v[70:71], v[162:163], s[2:3], v[70:71] op_sel:[1,0,0] op_sel_hi:[0,0,1] neg_lo:[1,0,0] neg_hi:[1,0,0]
	v_pk_fma_f32 v[68:69], v[162:163], s[6:7], v[68:69] op_sel:[1,0,0] op_sel_hi:[0,0,1]
	v_pk_fma_f32 v[164:165], v[162:163], s[6:7], v[164:165] op_sel:[1,0,0] op_sel_hi:[0,0,1] neg_lo:[1,0,0] neg_hi:[1,0,0]
	;; [unrolled: 2-line block ×3, first 2 shown]
	v_mov_b32_e32 v163, v69
	v_mov_b32_e32 v69, v165
	;; [unrolled: 1-line block ×4, first 2 shown]
	v_pk_fma_f32 v[68:69], v[76:77], s[8:9], v[68:69] op_sel_hi:[1,0,1]
	v_pk_fma_f32 v[70:71], v[82:83], s[8:9], v[70:71] op_sel_hi:[1,0,1]
	v_mov_b32_e32 v162, v164
	v_mov_b32_e32 v164, v78
	ds_write2_b64 v135, v[68:69], v[70:71] offset0:110 offset1:235
	v_pk_fma_f32 v[68:69], v[76:77], s[8:9], v[162:163] op_sel_hi:[1,0,1]
	v_pk_fma_f32 v[70:71], v[82:83], s[8:9], v[164:165] op_sel_hi:[1,0,1]
	v_mov_b32_e32 v162, v67
	ds_write2_b64 v137, v[70:71], v[68:69] offset0:104 offset1:229
	v_pk_mul_f32 v[68:69], v[198:199], v[162:163] op_sel_hi:[1,0]
	v_mov_b32_e32 v153, v155
	v_pk_fma_f32 v[70:71], v[198:199], v[66:67], v[68:69] op_sel:[0,0,1] op_sel_hi:[1,1,0] neg_lo:[0,0,1] neg_hi:[0,0,1]
	v_pk_fma_f32 v[68:69], v[198:199], v[66:67], v[68:69] op_sel:[0,0,1] op_sel_hi:[1,0,0]
	v_mov_b32_e32 v175, v177
	v_mov_b32_e32 v71, v69
	v_pk_add_f32 v[68:69], v[156:157], v[152:153] neg_lo:[0,1] neg_hi:[0,1]
	v_pk_add_f32 v[76:77], v[70:71], v[174:175] neg_lo:[0,1] neg_hi:[0,1]
	v_lshl_add_u32 v39, v61, 3, v62
	v_pk_add_f32 v[62:63], v[152:153], v[174:175]
	v_pk_add_f32 v[68:69], v[68:69], v[76:77]
	v_pk_fma_f32 v[62:63], v[62:63], 0.5, v[74:75] op_sel_hi:[1,0,1] neg_lo:[1,0,0] neg_hi:[1,0,0]
	v_pk_add_f32 v[76:77], v[156:157], v[70:71] neg_lo:[0,1] neg_hi:[0,1]
	v_pk_add_f32 v[82:83], v[152:153], v[174:175] neg_lo:[0,1] neg_hi:[0,1]
	v_pk_fma_f32 v[78:79], v[76:77], s[2:3], v[62:63] op_sel:[1,0,0] op_sel_hi:[0,0,1] neg_lo:[1,0,0] neg_hi:[1,0,0]
	v_pk_fma_f32 v[62:63], v[76:77], s[2:3], v[62:63] op_sel:[1,0,0] op_sel_hi:[0,0,1]
	v_pk_add_f32 v[154:155], v[74:75], v[156:157]
	v_pk_fma_f32 v[62:63], v[82:83], s[6:7], v[62:63] op_sel:[1,0,0] op_sel_hi:[0,0,1]
	v_pk_fma_f32 v[78:79], v[82:83], s[6:7], v[78:79] op_sel:[1,0,0] op_sel_hi:[0,0,1] neg_lo:[1,0,0] neg_hi:[1,0,0]
	v_pk_add_f32 v[154:155], v[154:155], v[152:153]
	v_mov_b32_e32 v159, v63
	v_pk_add_f32 v[154:155], v[154:155], v[174:175]
	v_mov_b32_e32 v63, v79
	v_pk_add_f32 v[154:155], v[154:155], v[70:71]
	v_pk_fma_f32 v[62:63], v[68:69], s[8:9], v[62:63] op_sel_hi:[1,0,1]
	v_add_u32_e32 v47, 0x2400, v39
	ds_write2_b64 v125, v[194:195], v[196:197] offset1:125
	ds_write2_b64 v47, v[154:155], v[62:63] offset0:98 offset1:223
	v_pk_add_f32 v[62:63], v[156:157], v[70:71]
	v_pk_add_f32 v[70:71], v[174:175], v[70:71] neg_lo:[0,1] neg_hi:[0,1]
	v_pk_fma_f32 v[62:63], v[62:63], 0.5, v[74:75] op_sel_hi:[1,0,1] neg_lo:[1,0,0] neg_hi:[1,0,0]
	v_pk_add_f32 v[74:75], v[152:153], v[156:157] neg_lo:[0,1] neg_hi:[0,1]
	v_add_u32_e32 v59, 0x2c00, v39
	v_pk_add_f32 v[70:71], v[74:75], v[70:71]
	v_pk_fma_f32 v[74:75], v[82:83], s[2:3], v[62:63] op_sel:[1,0,0] op_sel_hi:[0,0,1]
	v_pk_fma_f32 v[62:63], v[82:83], s[2:3], v[62:63] op_sel:[1,0,0] op_sel_hi:[0,0,1] neg_lo:[1,0,0] neg_hi:[1,0,0]
	v_pk_fma_f32 v[62:63], v[76:77], s[6:7], v[62:63] op_sel:[1,0,0] op_sel_hi:[0,0,1]
	v_pk_fma_f32 v[74:75], v[76:77], s[6:7], v[74:75] op_sel:[1,0,0] op_sel_hi:[0,0,1] neg_lo:[1,0,0] neg_hi:[1,0,0]
	v_mov_b32_e32 v76, v74
	v_mov_b32_e32 v77, v63
	;; [unrolled: 1-line block ×3, first 2 shown]
	v_pk_fma_f32 v[74:75], v[70:71], s[8:9], v[76:77] op_sel_hi:[1,0,1]
	v_pk_fma_f32 v[62:63], v[70:71], s[8:9], v[62:63] op_sel_hi:[1,0,1]
	v_mov_b32_e32 v158, v78
	ds_write2_b64 v59, v[62:63], v[74:75] offset0:92 offset1:217
	v_pk_fma_f32 v[62:63], v[68:69], s[8:9], v[158:159] op_sel_hi:[1,0,1]
	v_lshlrev_b32_e32 v82, 4, v110
	v_mov_b32_e32 v83, v81
	ds_write_b64 v39, v[62:63] offset:14000
	v_lshl_add_u64 v[62:63], s[10:11], 0, v[82:83]
	v_add_co_u32_e32 v62, vcc, s3, v62
	v_lshl_add_u64 v[68:69], s[10:11], 0, v[80:81]
	s_nop 0
	v_addc_co_u32_e32 v63, vcc, 0, v63, vcc
	s_waitcnt lgkmcnt(0)
	s_barrier
	global_load_dwordx4 v[60:63], v[62:63], off offset:864
	v_add_co_u32_e32 v68, vcc, s3, v68
	v_lshlrev_b32_e32 v80, 4, v72
	s_nop 0
	v_addc_co_u32_e32 v69, vcc, 0, v69, vcc
	global_load_dwordx4 v[68:71], v[68:69], off offset:864
	v_lshl_add_u64 v[72:73], s[10:11], 0, v[80:81]
	v_add_co_u32_e32 v72, vcc, s3, v72
	v_add_u32_e32 v80, 0x1770, v82
	s_nop 0
	v_addc_co_u32_e32 v73, vcc, 0, v73, vcc
	v_lshl_add_u64 v[76:77], s[10:11], 0, v[80:81]
	global_load_dwordx4 v[72:75], v[72:73], off offset:864
	v_add_co_u32_e32 v76, vcc, s3, v76
	v_add_u32_e32 v80, 0x1f40, v82
	s_nop 0
	v_addc_co_u32_e32 v77, vcc, 0, v77, vcc
	global_load_dwordx4 v[76:79], v[76:77], off offset:864
	v_lshl_add_u64 v[80:81], s[10:11], 0, v[80:81]
	v_add_co_u32_e32 v80, vcc, s3, v80
	ds_read2_b64 v[152:155], v127 offset0:98 offset1:223
	s_nop 0
	v_addc_co_u32_e32 v81, vcc, 0, v81, vcc
	global_load_dwordx4 v[80:83], v[80:81], off offset:864
	ds_read2_b64 v[164:167], v135 offset0:110 offset1:235
	s_mov_b32 s10, 0x3f5db3d7
	s_movk_i32 s3, 0x5000
	s_waitcnt vmcnt(4)
	v_mov_b32_e32 v158, v63
	s_waitcnt lgkmcnt(1)
	v_pk_mul_f32 v[156:157], v[152:153], v[158:159] op_sel_hi:[1,0]
	s_nop 0
	v_pk_fma_f32 v[172:173], v[152:153], v[62:63], v[156:157] op_sel:[0,0,1] op_sel_hi:[1,1,0] neg_lo:[0,0,1] neg_hi:[0,0,1]
	v_pk_fma_f32 v[152:153], v[152:153], v[62:63], v[156:157] op_sel:[0,0,1] op_sel_hi:[1,0,0]
	v_add_u32_e32 v63, 0x2800, v125
	s_waitcnt vmcnt(3)
	v_mov_b32_e32 v156, v71
	v_pk_mul_f32 v[168:169], v[154:155], v[156:157] op_sel_hi:[1,0]
	v_mov_b32_e32 v173, v153
	v_pk_fma_f32 v[174:175], v[154:155], v[70:71], v[168:169] op_sel:[0,0,1] op_sel_hi:[1,1,0] neg_lo:[0,0,1] neg_hi:[0,0,1]
	v_pk_fma_f32 v[154:155], v[154:155], v[70:71], v[168:169] op_sel:[0,0,1] op_sel_hi:[1,0,0]
	s_waitcnt lgkmcnt(0)
	v_pk_mul_f32 v[168:169], v[164:165], v[68:69] op_sel:[0,1]
	v_mov_b32_e32 v175, v155
	v_pk_fma_f32 v[176:177], v[164:165], v[68:69], v[168:169] op_sel:[0,0,1] op_sel_hi:[1,1,0] neg_lo:[0,0,1] neg_hi:[0,0,1]
	v_pk_fma_f32 v[178:179], v[164:165], v[68:69], v[168:169] op_sel:[0,0,1] op_sel_hi:[1,0,0]
	ds_read2_b64 v[168:171], v131 offset0:92 offset1:217
	s_waitcnt vmcnt(2)
	v_pk_mul_f32 v[164:165], v[166:167], v[72:73] op_sel:[0,1]
	v_mov_b32_e32 v154, v75
	v_pk_fma_f32 v[180:181], v[166:167], v[72:73], v[164:165] op_sel:[0,0,1] op_sel_hi:[1,1,0] neg_lo:[0,0,1] neg_hi:[0,0,1]
	v_pk_fma_f32 v[182:183], v[166:167], v[72:73], v[164:165] op_sel:[0,0,1] op_sel_hi:[1,0,0]
	s_waitcnt lgkmcnt(0)
	v_pk_mul_f32 v[164:165], v[168:169], v[154:155] op_sel_hi:[1,0]
	s_waitcnt vmcnt(1)
	v_mov_b32_e32 v152, v79
	v_pk_fma_f32 v[184:185], v[168:169], v[74:75], v[164:165] op_sel:[0,0,1] op_sel_hi:[1,1,0] neg_lo:[0,0,1] neg_hi:[0,0,1]
	v_pk_fma_f32 v[186:187], v[168:169], v[74:75], v[164:165] op_sel:[0,0,1] op_sel_hi:[1,0,0]
	ds_read2_b64 v[164:167], v137 offset0:104 offset1:229
	v_pk_mul_f32 v[168:169], v[170:171], v[152:153] op_sel_hi:[1,0]
	v_mov_b32_e32 v177, v179
	v_pk_fma_f32 v[188:189], v[170:171], v[78:79], v[168:169] op_sel:[0,0,1] op_sel_hi:[1,1,0] neg_lo:[0,0,1] neg_hi:[0,0,1]
	v_pk_fma_f32 v[190:191], v[170:171], v[78:79], v[168:169] op_sel:[0,0,1] op_sel_hi:[1,0,0]
	ds_read2_b64 v[168:171], v129 offset0:116 offset1:241
	s_waitcnt lgkmcnt(1)
	v_pk_mul_f32 v[192:193], v[164:165], v[76:77] op_sel:[0,1]
	v_mov_b32_e32 v181, v183
	v_pk_fma_f32 v[194:195], v[164:165], v[76:77], v[192:193] op_sel:[0,0,1] op_sel_hi:[1,1,0] neg_lo:[0,0,1] neg_hi:[0,0,1]
	v_pk_fma_f32 v[192:193], v[164:165], v[76:77], v[192:193] op_sel:[0,0,1] op_sel_hi:[1,0,0]
	s_waitcnt vmcnt(0)
	v_pk_mul_f32 v[164:165], v[166:167], v[80:81] op_sel:[0,1]
	v_mov_b32_e32 v185, v187
	v_pk_fma_f32 v[196:197], v[166:167], v[80:81], v[164:165] op_sel:[0,0,1] op_sel_hi:[1,1,0] neg_lo:[0,0,1] neg_hi:[0,0,1]
	v_pk_fma_f32 v[198:199], v[166:167], v[80:81], v[164:165] op_sel:[0,0,1] op_sel_hi:[1,0,0]
	s_waitcnt lgkmcnt(0)
	v_pk_mul_f32 v[164:165], v[170:171], v[60:61] op_sel:[0,1]
	v_mov_b32_e32 v195, v193
	v_pk_fma_f32 v[200:201], v[170:171], v[60:61], v[164:165] op_sel:[0,0,1] op_sel_hi:[1,1,0] neg_lo:[0,0,1] neg_hi:[0,0,1]
	v_pk_fma_f32 v[170:171], v[170:171], v[60:61], v[164:165] op_sel:[0,0,1] op_sel_hi:[1,0,0]
	ds_read2_b64 v[164:167], v125 offset1:125
	v_mov_b32_e32 v201, v171
	v_mov_b32_e32 v189, v191
	v_mov_b32_e32 v197, v199
	s_waitcnt lgkmcnt(0)
	v_pk_add_f32 v[170:171], v[164:165], v[200:201]
	s_nop 0
	v_pk_add_f32 v[178:179], v[170:171], v[172:173]
	v_pk_add_f32 v[170:171], v[200:201], v[172:173]
	v_pk_add_f32 v[172:173], v[200:201], v[172:173] neg_lo:[0,1] neg_hi:[0,1]
	v_pk_fma_f32 v[164:165], v[170:171], 0.5, v[164:165] op_sel_hi:[1,0,1] neg_lo:[1,0,0] neg_hi:[1,0,0]
	v_pk_mul_f32 v[170:171], v[172:173], s[10:11] op_sel_hi:[1,0]
	s_nop 0
	v_pk_add_f32 v[200:201], v[164:165], v[170:171] op_sel:[0,1] op_sel_hi:[1,0]
	v_pk_add_f32 v[164:165], v[164:165], v[170:171] op_sel:[0,1] op_sel_hi:[1,0] neg_lo:[0,1] neg_hi:[0,1]
	ds_read2_b64 v[170:173], v139 offset0:122 offset1:247
	v_mov_b32_e32 v203, v165
	v_mov_b32_e32 v165, v201
	ds_write_b64 v125, v[164:165] offset:10000
	v_pk_add_f32 v[164:165], v[166:167], v[176:177]
	v_mov_b32_e32 v202, v200
	v_pk_add_f32 v[164:165], v[164:165], v[174:175]
	ds_write_b64 v125, v[202:203] offset:5000
	ds_read_b64 v[200:201], v125 offset:14000
	ds_write2_b64 v125, v[178:179], v[164:165] offset1:125
	v_pk_add_f32 v[164:165], v[176:177], v[174:175]
	s_nop 0
	v_pk_fma_f32 v[164:165], v[164:165], 0.5, v[166:167] op_sel_hi:[1,0,1] neg_lo:[1,0,0] neg_hi:[1,0,0]
	v_pk_add_f32 v[166:167], v[176:177], v[174:175] neg_lo:[0,1] neg_hi:[0,1]
	v_pk_add_f32 v[176:177], v[180:181], v[184:185] neg_lo:[0,1] neg_hi:[0,1]
	v_pk_mul_f32 v[166:167], v[166:167], s[10:11] op_sel_hi:[1,0]
	v_pk_mul_f32 v[176:177], v[176:177], s[10:11] op_sel_hi:[1,0]
	v_pk_add_f32 v[174:175], v[164:165], v[166:167] op_sel:[0,1] op_sel_hi:[1,0]
	v_pk_add_f32 v[164:165], v[164:165], v[166:167] op_sel:[0,1] op_sel_hi:[1,0] neg_lo:[0,1] neg_hi:[0,1]
	v_pk_add_f32 v[166:167], v[180:181], v[184:185]
	s_waitcnt lgkmcnt(4)
	v_pk_fma_f32 v[166:167], v[166:167], 0.5, v[170:171] op_sel_hi:[1,0,1] neg_lo:[1,0,0] neg_hi:[1,0,0]
	s_nop 0
	v_pk_add_f32 v[178:179], v[166:167], v[176:177] op_sel:[0,1] op_sel_hi:[1,0]
	v_pk_add_f32 v[166:167], v[166:167], v[176:177] op_sel:[0,1] op_sel_hi:[1,0] neg_lo:[0,1] neg_hi:[0,1]
	v_mov_b32_e32 v177, v165
	v_mov_b32_e32 v183, v167
	;; [unrolled: 1-line block ×4, first 2 shown]
	ds_write2_b64 v63, v[164:165], v[166:167] offset0:95 offset1:220
	v_pk_add_f32 v[164:165], v[170:171], v[180:181]
	v_pk_add_f32 v[166:167], v[172:173], v[194:195]
	v_mov_b32_e32 v176, v174
	v_mov_b32_e32 v182, v178
	v_pk_add_f32 v[164:165], v[164:165], v[184:185]
	v_pk_add_f32 v[166:167], v[166:167], v[188:189]
	ds_write2_b64 v135, v[176:177], v[182:183] offset0:110 offset1:235
	ds_write2_b64 v139, v[164:165], v[166:167] offset0:122 offset1:247
	v_pk_add_f32 v[164:165], v[194:195], v[188:189]
	v_pk_add_f32 v[174:175], v[194:195], v[188:189] neg_lo:[0,1] neg_hi:[0,1]
	v_pk_fma_f32 v[166:167], v[164:165], 0.5, v[172:173] op_sel_hi:[1,0,1] neg_lo:[1,0,0] neg_hi:[1,0,0]
	v_mov_b32_e32 v164, v83
	s_waitcnt lgkmcnt(4)
	v_pk_mul_f32 v[170:171], v[200:201], v[164:165] op_sel_hi:[1,0]
	v_pk_mul_f32 v[174:175], v[174:175], s[10:11] op_sel_hi:[1,0]
	v_pk_fma_f32 v[172:173], v[200:201], v[82:83], v[170:171] op_sel:[0,0,1] op_sel_hi:[1,1,0] neg_lo:[0,0,1] neg_hi:[0,0,1]
	v_pk_fma_f32 v[170:171], v[200:201], v[82:83], v[170:171] op_sel:[0,0,1] op_sel_hi:[1,0,0]
	v_pk_add_f32 v[176:177], v[166:167], v[174:175] op_sel:[0,1] op_sel_hi:[1,0]
	v_mov_b32_e32 v173, v171
	v_pk_add_f32 v[170:171], v[196:197], v[172:173]
	v_pk_add_f32 v[166:167], v[166:167], v[174:175] op_sel:[0,1] op_sel_hi:[1,0] neg_lo:[0,1] neg_hi:[0,1]
	v_pk_fma_f32 v[170:171], v[170:171], 0.5, v[168:169] op_sel_hi:[1,0,1] neg_lo:[1,0,0] neg_hi:[1,0,0]
	v_pk_add_f32 v[168:169], v[168:169], v[196:197]
	v_mov_b32_e32 v175, v167
	v_mov_b32_e32 v167, v177
	ds_write_b64 v125, v[166:167] offset:13000
	v_pk_add_f32 v[166:167], v[168:169], v[172:173]
	ds_write_b64 v125, v[166:167] offset:4000
	v_pk_add_f32 v[166:167], v[196:197], v[172:173] neg_lo:[0,1] neg_hi:[0,1]
	v_mov_b32_e32 v174, v176
	v_pk_mul_f32 v[166:167], v[166:167], s[10:11] op_sel_hi:[1,0]
	s_nop 0
	v_pk_add_f32 v[168:169], v[170:171], v[166:167] op_sel:[0,1] op_sel_hi:[1,0]
	v_pk_add_f32 v[166:167], v[170:171], v[166:167] op_sel:[0,1] op_sel_hi:[1,0] neg_lo:[0,1] neg_hi:[0,1]
	v_mov_b32_e32 v170, v168
	v_mov_b32_e32 v171, v167
	;; [unrolled: 1-line block ×3, first 2 shown]
	ds_write2_b64 v137, v[174:175], v[170:171] offset0:104 offset1:229
	ds_write_b64 v125, v[166:167] offset:14000
	s_waitcnt lgkmcnt(0)
	s_barrier
	global_load_dwordx2 v[132:133], v[132:133], off offset:2712
	v_lshl_add_u64 v[166:167], v[120:121], 0, s[12:13]
	global_load_dwordx2 v[174:175], v[166:167], off offset:1000
	v_add_co_u32_e32 v168, vcc, s3, v120
	s_movk_i32 s3, 0x6000
	s_nop 0
	v_addc_co_u32_e32 v169, vcc, 0, v121, vcc
	global_load_dwordx2 v[176:177], v[168:169], off offset:520
	global_load_dwordx2 v[178:179], v[168:169], off offset:1520
	v_add_co_u32_e32 v170, vcc, s3, v120
	s_movk_i32 s3, 0x4000
	s_nop 0
	v_addc_co_u32_e32 v171, vcc, 0, v121, vcc
	global_load_dwordx2 v[180:181], v[170:171], off offset:2424
	global_load_dwordx2 v[182:183], v[170:171], off offset:3424
	;; [unrolled: 1-line block ×6, first 2 shown]
	v_add_co_u32_e32 v166, vcc, s3, v120
	s_movk_i32 s3, 0x7000
	s_nop 0
	v_addc_co_u32_e32 v167, vcc, 0, v121, vcc
	global_load_dwordx2 v[192:193], v[166:167], off offset:3616
	global_load_dwordx2 v[194:195], v[168:169], off offset:3520
	;; [unrolled: 1-line block ×4, first 2 shown]
	v_add_co_u32_e32 v120, vcc, s3, v120
	ds_read2_b64 v[166:169], v125 offset1:125
	s_nop 0
	v_addc_co_u32_e32 v121, vcc, 0, v121, vcc
	global_load_dwordx2 v[120:121], v[120:121], off offset:328
	ds_read2_b64 v[170:173], v135 offset0:110 offset1:235
	s_waitcnt vmcnt(14) lgkmcnt(1)
	v_mul_f32_e32 v67, v167, v133
	v_fma_f32 v200, v166, v132, -v67
	v_mul_f32_e32 v201, v166, v133
	s_waitcnt vmcnt(13)
	v_mul_f32_e32 v67, v169, v175
	v_mul_f32_e32 v133, v168, v175
	v_fmac_f32_e32 v201, v167, v132
	v_fma_f32 v132, v168, v174, -v67
	v_fmac_f32_e32 v133, v169, v174
	ds_read2_b64 v[166:169], v131 offset0:92 offset1:217
	s_waitcnt vmcnt(12) lgkmcnt(1)
	v_mul_f32_e32 v67, v171, v177
	v_fma_f32 v174, v170, v176, -v67
	v_mul_f32_e32 v175, v170, v177
	s_waitcnt vmcnt(11)
	v_mul_f32_e32 v67, v173, v179
	v_mul_f32_e32 v177, v172, v179
	v_fmac_f32_e32 v175, v171, v176
	v_fma_f32 v176, v172, v178, -v67
	v_fmac_f32_e32 v177, v173, v178
	s_waitcnt vmcnt(10) lgkmcnt(0)
	v_mul_f32_e32 v67, v167, v181
	ds_read2_b64 v[170:173], v139 offset0:122 offset1:247
	v_fma_f32 v178, v166, v180, -v67
	v_mul_f32_e32 v179, v166, v181
	s_waitcnt vmcnt(9)
	v_mul_f32_e32 v67, v169, v183
	v_mul_f32_e32 v181, v168, v183
	v_fmac_f32_e32 v179, v167, v180
	v_fma_f32 v180, v168, v182, -v67
	v_fmac_f32_e32 v181, v169, v182
	ds_read2_b64 v[166:169], v129 offset0:116 offset1:241
	s_waitcnt vmcnt(8) lgkmcnt(1)
	v_mul_f32_e32 v67, v173, v185
	v_fma_f32 v182, v172, v184, -v67
	v_mul_f32_e32 v183, v172, v185
	s_waitcnt vmcnt(7)
	v_mul_f32_e32 v67, v171, v187
	v_mul_f32_e32 v185, v170, v187
	v_fmac_f32_e32 v183, v173, v184
	v_fma_f32 v184, v170, v186, -v67
	v_fmac_f32_e32 v185, v171, v186
	s_waitcnt vmcnt(5) lgkmcnt(0)
	v_mul_f32_e32 v67, v167, v191
	ds_read2_b64 v[170:173], v137 offset0:104 offset1:229
	v_fma_f32 v186, v166, v190, -v67
	v_mul_f32_e32 v187, v166, v191
	s_waitcnt vmcnt(4)
	v_mul_f32_e32 v67, v169, v193
	v_mul_f32_e32 v191, v168, v193
	v_fmac_f32_e32 v187, v167, v190
	v_fma_f32 v190, v168, v192, -v67
	v_fmac_f32_e32 v191, v169, v192
	ds_read2_b64 v[166:169], v127 offset0:98 offset1:223
	ds_write2_b64 v125, v[200:201], v[132:133] offset1:125
	ds_write2_b64 v135, v[174:175], v[176:177] offset0:110 offset1:235
	ds_write2_b64 v131, v[178:179], v[180:181] offset0:92 offset1:217
	s_waitcnt vmcnt(3) lgkmcnt(4)
	v_mul_f32_e32 v193, v172, v195
	ds_read_b64 v[132:133], v125 offset:14000
	v_mul_f32_e32 v67, v173, v195
	v_fmac_f32_e32 v193, v173, v194
	v_mul_f32_e32 v173, v170, v189
	v_fma_f32 v192, v172, v194, -v67
	v_mul_f32_e32 v67, v171, v189
	v_fmac_f32_e32 v173, v171, v188
	s_waitcnt vmcnt(2) lgkmcnt(4)
	v_mul_f32_e32 v171, v166, v197
	v_fma_f32 v172, v170, v188, -v67
	v_mul_f32_e32 v67, v167, v197
	v_fmac_f32_e32 v171, v167, v196
	s_waitcnt vmcnt(1)
	v_mul_f32_e32 v167, v168, v199
	v_fma_f32 v170, v166, v196, -v67
	v_mul_f32_e32 v67, v169, v199
	v_fmac_f32_e32 v167, v169, v198
	v_fma_f32 v166, v168, v198, -v67
	ds_write2_b64 v139, v[184:185], v[182:183] offset0:122 offset1:247
	ds_write2_b64 v129, v[186:187], v[190:191] offset0:116 offset1:241
	;; [unrolled: 1-line block ×4, first 2 shown]
	s_waitcnt vmcnt(0) lgkmcnt(4)
	v_mul_f32_e32 v67, v133, v121
	v_mul_f32_e32 v167, v132, v121
	v_fma_f32 v166, v132, v120, -v67
	v_fmac_f32_e32 v167, v133, v120
	ds_write_b64 v125, v[166:167] offset:14000
	s_waitcnt lgkmcnt(0)
	s_barrier
	ds_read2_b64 v[166:169], v135 offset0:110 offset1:235
	ds_read2_b64 v[170:173], v139 offset0:122 offset1:247
	;; [unrolled: 1-line block ×4, first 2 shown]
	ds_read2_b64 v[182:185], v125 offset1:125
	s_waitcnt lgkmcnt(3)
	v_pk_add_f32 v[120:121], v[172:173], v[166:167] neg_lo:[0,1] neg_hi:[0,1]
	s_waitcnt lgkmcnt(2)
	v_pk_add_f32 v[194:195], v[172:173], v[174:175] neg_lo:[0,1] neg_hi:[0,1]
	;; [unrolled: 2-line block ×3, first 2 shown]
	v_pk_mul_f32 v[186:187], v[194:195], s[2:3] op_sel_hi:[1,0]
	v_pk_add_f32 v[120:121], v[120:121], v[132:133]
	v_pk_add_f32 v[132:133], v[166:167], v[180:181]
	v_pk_add_f32 v[196:197], v[166:167], v[180:181] neg_lo:[0,1] neg_hi:[0,1]
	s_waitcnt lgkmcnt(0)
	v_pk_fma_f32 v[132:133], v[132:133], 0.5, v[182:183] op_sel_hi:[1,0,1] neg_lo:[1,0,0] neg_hi:[1,0,0]
	s_nop 0
	v_pk_add_f32 v[188:189], v[132:133], v[186:187] op_sel:[0,1] op_sel_hi:[1,0] neg_lo:[0,1] neg_hi:[0,1]
	v_pk_add_f32 v[132:133], v[132:133], v[186:187] op_sel:[0,1] op_sel_hi:[1,0]
	v_pk_mul_f32 v[186:187], v[196:197], s[6:7] op_sel_hi:[1,0]
	s_nop 0
	v_pk_add_f32 v[132:133], v[132:133], v[186:187] op_sel:[0,1] op_sel_hi:[1,0]
	v_pk_add_f32 v[198:199], v[188:189], v[186:187] op_sel:[0,1] op_sel_hi:[1,0] neg_lo:[0,1] neg_hi:[0,1]
	v_pk_add_f32 v[186:187], v[182:183], v[172:173]
	v_mov_b32_e32 v204, v198
	v_pk_add_f32 v[186:187], v[186:187], v[166:167]
	v_pk_add_f32 v[166:167], v[166:167], v[172:173] neg_lo:[0,1] neg_hi:[0,1]
	v_pk_add_f32 v[186:187], v[186:187], v[180:181]
	v_pk_add_f32 v[172:173], v[172:173], v[174:175]
	;; [unrolled: 1-line block ×3, first 2 shown]
	ds_read_b64 v[202:203], v125 offset:14000
	ds_read2_b64 v[186:189], v129 offset0:116 offset1:241
	ds_read2_b64 v[190:193], v127 offset0:98 offset1:223
	v_pk_add_f32 v[180:181], v[180:181], v[174:175] neg_lo:[0,1] neg_hi:[0,1]
	v_pk_fma_f32 v[172:173], v[172:173], 0.5, v[182:183] op_sel_hi:[1,0,1] neg_lo:[1,0,0] neg_hi:[1,0,0]
	v_pk_mul_f32 v[174:175], v[196:197], s[2:3] op_sel_hi:[1,0]
	v_pk_add_f32 v[166:167], v[166:167], v[180:181]
	v_pk_add_f32 v[180:181], v[172:173], v[174:175] op_sel:[0,1] op_sel_hi:[1,0]
	v_pk_add_f32 v[172:173], v[172:173], v[174:175] op_sel:[0,1] op_sel_hi:[1,0] neg_lo:[0,1] neg_hi:[0,1]
	v_pk_mul_f32 v[174:175], v[194:195], s[6:7] op_sel_hi:[1,0]
	v_mov_b32_e32 v205, v133
	v_pk_add_f32 v[172:173], v[172:173], v[174:175] op_sel:[0,1] op_sel_hi:[1,0]
	v_pk_add_f32 v[174:175], v[180:181], v[174:175] op_sel:[0,1] op_sel_hi:[1,0] neg_lo:[0,1] neg_hi:[0,1]
	v_mov_b32_e32 v181, v173
	v_mov_b32_e32 v180, v174
	;; [unrolled: 1-line block ×3, first 2 shown]
	v_pk_fma_f32 v[174:175], v[166:167], s[8:9], v[180:181] op_sel_hi:[1,0,1]
	v_pk_fma_f32 v[166:167], v[166:167], s[8:9], v[172:173] op_sel_hi:[1,0,1]
	v_mov_b32_e32 v133, v199
	s_waitcnt lgkmcnt(0)
	s_barrier
	v_pk_fma_f32 v[204:205], v[120:121], s[8:9], v[204:205] op_sel_hi:[1,0,1]
	ds_write2_b64 v101, v[174:175], v[166:167] offset0:2 offset1:3
	v_pk_fma_f32 v[120:121], v[120:121], s[8:9], v[132:133] op_sel_hi:[1,0,1]
	v_pk_add_f32 v[172:173], v[186:187], v[168:169] neg_lo:[0,1] neg_hi:[0,1]
	v_pk_add_f32 v[174:175], v[176:177], v[190:191] neg_lo:[0,1] neg_hi:[0,1]
	ds_write_b64 v101, v[120:121] offset:32
	v_pk_add_f32 v[120:121], v[168:169], v[190:191]
	v_pk_add_f32 v[172:173], v[172:173], v[174:175]
	v_pk_add_f32 v[174:175], v[186:187], v[176:177] neg_lo:[0,1] neg_hi:[0,1]
	v_pk_fma_f32 v[120:121], v[120:121], 0.5, v[184:185] op_sel_hi:[1,0,1] neg_lo:[1,0,0] neg_hi:[1,0,0]
	v_pk_mul_f32 v[180:181], v[174:175], s[2:3] op_sel_hi:[1,0]
	v_pk_add_f32 v[132:133], v[186:187], v[176:177]
	v_pk_add_f32 v[182:183], v[120:121], v[180:181] op_sel:[0,1] op_sel_hi:[1,0] neg_lo:[0,1] neg_hi:[0,1]
	v_pk_add_f32 v[120:121], v[120:121], v[180:181] op_sel:[0,1] op_sel_hi:[1,0]
	v_pk_add_f32 v[180:181], v[168:169], v[190:191] neg_lo:[0,1] neg_hi:[0,1]
	v_pk_fma_f32 v[132:133], v[132:133], 0.5, v[184:185] op_sel_hi:[1,0,1] neg_lo:[1,0,0] neg_hi:[1,0,0]
	v_pk_add_f32 v[166:167], v[184:185], v[186:187]
	v_pk_mul_f32 v[184:185], v[180:181], s[6:7] op_sel_hi:[1,0]
	v_pk_add_f32 v[166:167], v[166:167], v[168:169]
	v_pk_add_f32 v[120:121], v[120:121], v[184:185] op_sel:[0,1] op_sel_hi:[1,0]
	v_pk_add_f32 v[182:183], v[182:183], v[184:185] op_sel:[0,1] op_sel_hi:[1,0] neg_lo:[0,1] neg_hi:[0,1]
	v_pk_add_f32 v[166:167], v[166:167], v[190:191]
	v_mov_b32_e32 v184, v182
	v_mov_b32_e32 v185, v121
	v_pk_add_f32 v[166:167], v[166:167], v[176:177]
	v_pk_fma_f32 v[184:185], v[172:173], s[8:9], v[184:185] op_sel_hi:[1,0,1]
	ds_write2_b64 v101, v[200:201], v[204:205] offset1:1
	ds_write2_b64 v141, v[166:167], v[184:185] offset1:1
	v_pk_add_f32 v[166:167], v[168:169], v[186:187] neg_lo:[0,1] neg_hi:[0,1]
	v_pk_add_f32 v[168:169], v[190:191], v[176:177] neg_lo:[0,1] neg_hi:[0,1]
	v_mov_b32_e32 v121, v183
	v_pk_add_f32 v[166:167], v[166:167], v[168:169]
	v_pk_mul_f32 v[168:169], v[180:181], s[2:3] op_sel_hi:[1,0]
	v_pk_fma_f32 v[120:121], v[172:173], s[8:9], v[120:121] op_sel_hi:[1,0,1]
	v_pk_add_f32 v[176:177], v[132:133], v[168:169] op_sel:[0,1] op_sel_hi:[1,0]
	v_pk_add_f32 v[132:133], v[132:133], v[168:169] op_sel:[0,1] op_sel_hi:[1,0] neg_lo:[0,1] neg_hi:[0,1]
	v_pk_mul_f32 v[168:169], v[174:175], s[6:7] op_sel_hi:[1,0]
	ds_write_b64 v141, v[120:121] offset:32
	v_pk_add_f32 v[132:133], v[132:133], v[168:169] op_sel:[0,1] op_sel_hi:[1,0]
	v_pk_add_f32 v[168:169], v[176:177], v[168:169] op_sel:[0,1] op_sel_hi:[1,0] neg_lo:[0,1] neg_hi:[0,1]
	v_mov_b32_e32 v175, v133
	v_mov_b32_e32 v174, v168
	;; [unrolled: 1-line block ×3, first 2 shown]
	v_pk_fma_f32 v[168:169], v[166:167], s[8:9], v[174:175] op_sel_hi:[1,0,1]
	v_pk_fma_f32 v[132:133], v[166:167], s[8:9], v[132:133] op_sel_hi:[1,0,1]
	ds_write2_b64 v141, v[168:169], v[132:133] offset0:2 offset1:3
	v_pk_add_f32 v[120:121], v[188:189], v[178:179] neg_lo:[0,1] neg_hi:[0,1]
	v_pk_add_f32 v[132:133], v[202:203], v[192:193] neg_lo:[0,1] neg_hi:[0,1]
	v_pk_add_f32 v[166:167], v[188:189], v[202:203] neg_lo:[0,1] neg_hi:[0,1]
	v_pk_add_f32 v[120:121], v[120:121], v[132:133]
	v_pk_add_f32 v[132:133], v[178:179], v[192:193]
	v_pk_mul_f32 v[168:169], v[166:167], s[2:3] op_sel_hi:[1,0]
	v_pk_fma_f32 v[132:133], v[132:133], 0.5, v[170:171] op_sel_hi:[1,0,1] neg_lo:[1,0,0] neg_hi:[1,0,0]
	v_pk_mul_f32 v[166:167], v[166:167], s[6:7] op_sel_hi:[1,0]
	v_pk_add_f32 v[172:173], v[132:133], v[168:169] op_sel:[0,1] op_sel_hi:[1,0] neg_lo:[0,1] neg_hi:[0,1]
	v_pk_add_f32 v[132:133], v[132:133], v[168:169] op_sel:[0,1] op_sel_hi:[1,0]
	v_pk_add_f32 v[168:169], v[178:179], v[192:193] neg_lo:[0,1] neg_hi:[0,1]
	v_mov_b32_e32 v101, v116
	v_pk_mul_f32 v[174:175], v[168:169], s[6:7] op_sel_hi:[1,0]
	v_pk_mul_f32 v[168:169], v[168:169], s[2:3] op_sel_hi:[1,0]
	v_pk_add_f32 v[132:133], v[132:133], v[174:175] op_sel:[0,1] op_sel_hi:[1,0]
	v_pk_add_f32 v[172:173], v[172:173], v[174:175] op_sel:[0,1] op_sel_hi:[1,0] neg_lo:[0,1] neg_hi:[0,1]
	v_pk_add_f32 v[174:175], v[170:171], v[188:189]
	v_mov_b32_e32 v176, v172
	v_pk_add_f32 v[174:175], v[174:175], v[178:179]
	v_mov_b32_e32 v177, v133
	v_pk_add_f32 v[174:175], v[174:175], v[192:193]
	v_pk_fma_f32 v[176:177], v[120:121], s[8:9], v[176:177] op_sel_hi:[1,0,1]
	v_pk_add_f32 v[174:175], v[174:175], v[202:203]
	ds_write2_b64 v111, v[174:175], v[176:177] offset1:1
	v_pk_add_f32 v[176:177], v[188:189], v[202:203]
	v_pk_add_f32 v[174:175], v[178:179], v[188:189] neg_lo:[0,1] neg_hi:[0,1]
	v_pk_fma_f32 v[170:171], v[176:177], 0.5, v[170:171] op_sel_hi:[1,0,1] neg_lo:[1,0,0] neg_hi:[1,0,0]
	v_pk_add_f32 v[176:177], v[192:193], v[202:203] neg_lo:[0,1] neg_hi:[0,1]
	v_mov_b32_e32 v133, v173
	v_pk_add_f32 v[174:175], v[174:175], v[176:177]
	v_pk_add_f32 v[176:177], v[170:171], v[168:169] op_sel:[0,1] op_sel_hi:[1,0]
	v_pk_add_f32 v[168:169], v[170:171], v[168:169] op_sel:[0,1] op_sel_hi:[1,0] neg_lo:[0,1] neg_hi:[0,1]
	v_pk_fma_f32 v[120:121], v[120:121], s[8:9], v[132:133] op_sel_hi:[1,0,1]
	v_pk_add_f32 v[168:169], v[168:169], v[166:167] op_sel:[0,1] op_sel_hi:[1,0]
	v_pk_add_f32 v[166:167], v[176:177], v[166:167] op_sel:[0,1] op_sel_hi:[1,0] neg_lo:[0,1] neg_hi:[0,1]
	v_mov_b32_e32 v171, v169
	v_mov_b32_e32 v170, v166
	;; [unrolled: 1-line block ×3, first 2 shown]
	v_pk_fma_f32 v[166:167], v[174:175], s[8:9], v[170:171] op_sel_hi:[1,0,1]
	v_pk_fma_f32 v[168:169], v[174:175], s[8:9], v[168:169] op_sel_hi:[1,0,1]
	ds_write2_b64 v111, v[166:167], v[168:169] offset0:2 offset1:3
	ds_write_b64 v111, v[120:121] offset:32
	s_waitcnt lgkmcnt(0)
	s_barrier
	ds_read_b64 v[132:133], v125 offset:14000
	ds_read2_b64 v[166:169], v127 offset0:98 offset1:223
	ds_read2_b64 v[170:173], v131 offset0:92 offset1:217
	s_waitcnt lgkmcnt(2)
	v_pk_mul_f32 v[150:151], v[150:151], v[132:133] op_sel_hi:[0,1]
	v_pk_fma_f32 v[120:121], v[10:11], v[132:133], v[150:151] op_sel:[0,0,1] op_sel_hi:[1,1,0]
	v_pk_fma_f32 v[132:133], v[10:11], v[132:133], v[150:151] op_sel:[0,0,1] op_sel_hi:[0,1,0] neg_lo:[0,0,1] neg_hi:[0,0,1]
	s_waitcnt lgkmcnt(1)
	v_pk_mul_f32 v[150:151], v[8:9], v[168:169] op_sel:[1,0]
	v_mov_b32_e32 v121, v133
	v_pk_fma_f32 v[10:11], v[8:9], v[168:169], v[150:151] op_sel:[0,0,1] op_sel_hi:[1,1,0]
	v_pk_fma_f32 v[8:9], v[8:9], v[168:169], v[150:151] op_sel:[0,0,1] op_sel_hi:[0,1,0] neg_lo:[0,0,1] neg_hi:[0,0,1]
	v_pk_mul_f32 v[150:151], v[16:17], v[166:167] op_sel:[1,0]
	v_mov_b32_e32 v11, v9
	v_pk_fma_f32 v[174:175], v[16:17], v[166:167], v[150:151] op_sel:[0,0,1] op_sel_hi:[1,1,0]
	v_pk_fma_f32 v[150:151], v[16:17], v[166:167], v[150:151] op_sel:[0,0,1] op_sel_hi:[0,1,0] neg_lo:[0,0,1] neg_hi:[0,0,1]
	s_waitcnt lgkmcnt(0)
	v_pk_mul_f32 v[16:17], v[130:131], v[172:173] op_sel_hi:[0,1]
	v_pk_fma_f32 v[176:177], v[18:19], v[172:173], v[16:17] op_sel:[0,0,1] op_sel_hi:[1,1,0]
	ds_read2_b64 v[166:169], v137 offset0:104 offset1:229
	v_pk_fma_f32 v[172:173], v[18:19], v[172:173], v[16:17] op_sel:[0,0,1] op_sel_hi:[0,1,0] neg_lo:[0,0,1] neg_hi:[0,0,1]
	v_pk_mul_f32 v[16:17], v[128:129], v[170:171] op_sel_hi:[0,1]
	v_pk_fma_f32 v[178:179], v[30:31], v[170:171], v[16:17] op_sel:[0,0,1] op_sel_hi:[1,1,0]
	v_pk_fma_f32 v[170:171], v[30:31], v[170:171], v[16:17] op_sel:[0,0,1] op_sel_hi:[0,1,0] neg_lo:[0,0,1] neg_hi:[0,0,1]
	ds_read2_b64 v[16:19], v129 offset0:116 offset1:241
	s_waitcnt lgkmcnt(1)
	v_pk_mul_f32 v[30:31], v[28:29], v[168:169] op_sel:[1,0]
	v_mov_b32_e32 v179, v171
	v_pk_fma_f32 v[180:181], v[28:29], v[168:169], v[30:31] op_sel:[0,0,1] op_sel_hi:[1,1,0]
	v_pk_fma_f32 v[168:169], v[28:29], v[168:169], v[30:31] op_sel:[0,0,1] op_sel_hi:[0,1,0] neg_lo:[0,0,1] neg_hi:[0,0,1]
	v_pk_mul_f32 v[28:29], v[126:127], v[166:167] op_sel_hi:[0,1]
	s_waitcnt lgkmcnt(0)
	v_pk_mul_f32 v[184:185], v[4:5], v[18:19] op_sel:[1,0]
	v_pk_fma_f32 v[182:183], v[6:7], v[166:167], v[28:29] op_sel:[0,0,1] op_sel_hi:[1,1,0]
	v_pk_fma_f32 v[166:167], v[6:7], v[166:167], v[28:29] op_sel:[0,0,1] op_sel_hi:[0,1,0] neg_lo:[0,0,1] neg_hi:[0,0,1]
	v_pk_fma_f32 v[186:187], v[4:5], v[18:19], v[184:185] op_sel:[0,0,1] op_sel_hi:[1,1,0]
	ds_read2_b64 v[28:31], v135 offset0:110 offset1:235
	v_pk_fma_f32 v[4:5], v[4:5], v[18:19], v[184:185] op_sel:[0,0,1] op_sel_hi:[0,1,0] neg_lo:[0,0,1] neg_hi:[0,0,1]
	v_pk_mul_f32 v[18:19], v[0:1], v[16:17] op_sel:[1,0]
	v_mov_b32_e32 v181, v169
	v_pk_fma_f32 v[184:185], v[0:1], v[16:17], v[18:19] op_sel:[0,0,1] op_sel_hi:[1,1,0]
	v_pk_fma_f32 v[188:189], v[0:1], v[16:17], v[18:19] op_sel:[0,0,1] op_sel_hi:[0,1,0] neg_lo:[0,0,1] neg_hi:[0,0,1]
	ds_read2_b64 v[16:19], v139 offset0:122 offset1:247
	s_waitcnt lgkmcnt(1)
	v_pk_mul_f32 v[0:1], v[124:125], v[30:31] op_sel_hi:[0,1]
	v_pk_fma_f32 v[190:191], v[2:3], v[30:31], v[0:1] op_sel:[0,0,1] op_sel_hi:[1,1,0]
	v_pk_fma_f32 v[30:31], v[2:3], v[30:31], v[0:1] op_sel:[0,0,1] op_sel_hi:[0,1,0] neg_lo:[0,0,1] neg_hi:[0,0,1]
	v_pk_mul_f32 v[0:1], v[122:123], v[28:29] op_sel_hi:[0,1]
	s_waitcnt lgkmcnt(0)
	v_pk_mul_f32 v[2:3], v[12:13], v[18:19] op_sel:[1,0]
	v_pk_fma_f32 v[192:193], v[14:15], v[28:29], v[0:1] op_sel:[0,0,1] op_sel_hi:[1,1,0]
	v_pk_fma_f32 v[0:1], v[14:15], v[28:29], v[0:1] op_sel:[0,0,1] op_sel_hi:[0,1,0] neg_lo:[0,0,1] neg_hi:[0,0,1]
	v_pk_fma_f32 v[14:15], v[12:13], v[18:19], v[2:3] op_sel:[0,0,1] op_sel_hi:[1,1,0]
	v_pk_fma_f32 v[2:3], v[12:13], v[18:19], v[2:3] op_sel:[0,0,1] op_sel_hi:[0,1,0] neg_lo:[0,0,1] neg_hi:[0,0,1]
	v_mov_b32_e32 v15, v3
	v_mov_b32_e32 v193, v1
	ds_read2_b64 v[0:3], v125 offset1:125
	v_pk_add_f32 v[12:13], v[14:15], v[192:193] neg_lo:[0,1] neg_hi:[0,1]
	v_pk_add_f32 v[18:19], v[178:179], v[180:181] neg_lo:[0,1] neg_hi:[0,1]
	;; [unrolled: 1-line block ×3, first 2 shown]
	v_pk_add_f32 v[12:13], v[12:13], v[18:19]
	v_pk_add_f32 v[18:19], v[192:193], v[180:181]
	v_pk_mul_f32 v[168:169], v[28:29], s[2:3] op_sel_hi:[1,0]
	s_waitcnt lgkmcnt(0)
	v_pk_fma_f32 v[18:19], v[18:19], 0.5, v[0:1] op_sel_hi:[1,0,1] neg_lo:[1,0,0] neg_hi:[1,0,0]
	s_nop 0
	v_pk_add_f32 v[170:171], v[18:19], v[168:169] op_sel:[0,1] op_sel_hi:[1,0] neg_lo:[0,1] neg_hi:[0,1]
	v_pk_add_f32 v[18:19], v[18:19], v[168:169] op_sel:[0,1] op_sel_hi:[1,0]
	v_pk_add_f32 v[168:169], v[192:193], v[180:181] neg_lo:[0,1] neg_hi:[0,1]
	s_barrier
	v_pk_mul_f32 v[194:195], v[168:169], s[6:7] op_sel_hi:[1,0]
	s_nop 0
	v_pk_add_f32 v[18:19], v[18:19], v[194:195] op_sel:[0,1] op_sel_hi:[1,0]
	v_pk_add_f32 v[170:171], v[170:171], v[194:195] op_sel:[0,1] op_sel_hi:[1,0] neg_lo:[0,1] neg_hi:[0,1]
	v_pk_add_f32 v[194:195], v[0:1], v[14:15]
	v_mov_b32_e32 v196, v170
	v_pk_add_f32 v[194:195], v[194:195], v[192:193]
	v_pk_add_f32 v[192:193], v[192:193], v[14:15] neg_lo:[0,1] neg_hi:[0,1]
	v_pk_add_f32 v[14:15], v[14:15], v[178:179]
	v_pk_add_f32 v[194:195], v[194:195], v[180:181]
	v_pk_fma_f32 v[0:1], v[14:15], 0.5, v[0:1] op_sel_hi:[1,0,1] neg_lo:[1,0,0] neg_hi:[1,0,0]
	v_pk_mul_f32 v[14:15], v[168:169], s[2:3] op_sel_hi:[1,0]
	v_pk_add_f32 v[194:195], v[194:195], v[178:179]
	v_pk_add_f32 v[168:169], v[0:1], v[14:15] op_sel:[0,1] op_sel_hi:[1,0]
	v_pk_add_f32 v[0:1], v[0:1], v[14:15] op_sel:[0,1] op_sel_hi:[1,0] neg_lo:[0,1] neg_hi:[0,1]
	v_pk_mul_f32 v[14:15], v[28:29], s[6:7] op_sel_hi:[1,0]
	v_pk_add_f32 v[178:179], v[180:181], v[178:179] neg_lo:[0,1] neg_hi:[0,1]
	v_pk_add_f32 v[0:1], v[0:1], v[14:15] op_sel:[0,1] op_sel_hi:[1,0]
	v_pk_add_f32 v[14:15], v[168:169], v[14:15] op_sel:[0,1] op_sel_hi:[1,0] neg_lo:[0,1] neg_hi:[0,1]
	v_pk_add_f32 v[178:179], v[192:193], v[178:179]
	v_mov_b32_e32 v28, v14
	v_mov_b32_e32 v29, v1
	;; [unrolled: 1-line block ×4, first 2 shown]
	v_pk_fma_f32 v[14:15], v[178:179], s[8:9], v[28:29] op_sel_hi:[1,0,1]
	v_pk_fma_f32 v[0:1], v[178:179], s[8:9], v[0:1] op_sel_hi:[1,0,1]
	v_mov_b32_e32 v19, v171
	v_pk_fma_f32 v[196:197], v[12:13], s[8:9], v[196:197] op_sel_hi:[1,0,1]
	ds_write2_b64 v7, v[14:15], v[0:1] offset0:10 offset1:15
	v_pk_fma_f32 v[0:1], v[12:13], s[8:9], v[18:19] op_sel_hi:[1,0,1]
	v_mov_b32_e32 v185, v189
	v_mov_b32_e32 v191, v31
	;; [unrolled: 1-line block ×4, first 2 shown]
	ds_write2_b64 v7, v[194:195], v[196:197] offset1:5
	ds_write_b64 v7, v[0:1] offset:160
	v_pk_add_f32 v[0:1], v[184:185], v[190:191] neg_lo:[0,1] neg_hi:[0,1]
	v_pk_add_f32 v[6:7], v[176:177], v[174:175] neg_lo:[0,1] neg_hi:[0,1]
	;; [unrolled: 1-line block ×3, first 2 shown]
	v_pk_add_f32 v[0:1], v[0:1], v[6:7]
	v_pk_add_f32 v[6:7], v[190:191], v[174:175]
	v_pk_mul_f32 v[14:15], v[12:13], s[2:3] op_sel_hi:[1,0]
	v_pk_fma_f32 v[6:7], v[6:7], 0.5, v[2:3] op_sel_hi:[1,0,1] neg_lo:[1,0,0] neg_hi:[1,0,0]
	v_pk_mul_f32 v[12:13], v[12:13], s[6:7] op_sel_hi:[1,0]
	v_pk_add_f32 v[18:19], v[6:7], v[14:15] op_sel:[0,1] op_sel_hi:[1,0] neg_lo:[0,1] neg_hi:[0,1]
	v_pk_add_f32 v[6:7], v[6:7], v[14:15] op_sel:[0,1] op_sel_hi:[1,0]
	v_pk_add_f32 v[14:15], v[190:191], v[174:175] neg_lo:[0,1] neg_hi:[0,1]
	v_mov_b32_e32 v187, v5
	v_pk_mul_f32 v[28:29], v[14:15], s[6:7] op_sel_hi:[1,0]
	v_pk_mul_f32 v[14:15], v[14:15], s[2:3] op_sel_hi:[1,0]
	v_pk_add_f32 v[6:7], v[6:7], v[28:29] op_sel:[0,1] op_sel_hi:[1,0]
	v_pk_add_f32 v[18:19], v[18:19], v[28:29] op_sel:[0,1] op_sel_hi:[1,0] neg_lo:[0,1] neg_hi:[0,1]
	v_pk_add_f32 v[28:29], v[2:3], v[184:185]
	v_mov_b32_e32 v30, v18
	v_pk_add_f32 v[28:29], v[28:29], v[190:191]
	v_mov_b32_e32 v31, v7
	v_pk_add_f32 v[28:29], v[28:29], v[174:175]
	v_pk_fma_f32 v[30:31], v[0:1], s[8:9], v[30:31] op_sel_hi:[1,0,1]
	v_pk_add_f32 v[28:29], v[28:29], v[176:177]
	ds_write2_b64 v143, v[28:29], v[30:31] offset1:5
	v_pk_add_f32 v[28:29], v[184:185], v[176:177]
	v_pk_add_f32 v[30:31], v[174:175], v[176:177] neg_lo:[0,1] neg_hi:[0,1]
	v_pk_fma_f32 v[2:3], v[28:29], 0.5, v[2:3] op_sel_hi:[1,0,1] neg_lo:[1,0,0] neg_hi:[1,0,0]
	v_pk_add_f32 v[28:29], v[190:191], v[184:185] neg_lo:[0,1] neg_hi:[0,1]
	v_mov_b32_e32 v7, v19
	v_pk_add_f32 v[28:29], v[28:29], v[30:31]
	v_pk_add_f32 v[30:31], v[2:3], v[14:15] op_sel:[0,1] op_sel_hi:[1,0]
	v_pk_add_f32 v[2:3], v[2:3], v[14:15] op_sel:[0,1] op_sel_hi:[1,0] neg_lo:[0,1] neg_hi:[0,1]
	v_pk_fma_f32 v[0:1], v[0:1], s[8:9], v[6:7] op_sel_hi:[1,0,1]
	v_pk_add_f32 v[2:3], v[2:3], v[12:13] op_sel:[0,1] op_sel_hi:[1,0]
	v_pk_add_f32 v[12:13], v[30:31], v[12:13] op_sel:[0,1] op_sel_hi:[1,0] neg_lo:[0,1] neg_hi:[0,1]
	v_mov_b32_e32 v15, v3
	v_mov_b32_e32 v14, v12
	;; [unrolled: 1-line block ×3, first 2 shown]
	v_pk_fma_f32 v[12:13], v[28:29], s[8:9], v[14:15] op_sel_hi:[1,0,1]
	v_pk_fma_f32 v[2:3], v[28:29], s[8:9], v[2:3] op_sel_hi:[1,0,1]
	v_mov_b32_e32 v183, v167
	ds_write2_b64 v143, v[12:13], v[2:3] offset0:10 offset1:15
	ds_write_b64 v143, v[0:1] offset:160
	v_pk_add_f32 v[0:1], v[186:187], v[182:183] neg_lo:[0,1] neg_hi:[0,1]
	v_pk_add_f32 v[2:3], v[120:121], v[10:11] neg_lo:[0,1] neg_hi:[0,1]
	;; [unrolled: 1-line block ×3, first 2 shown]
	v_pk_add_f32 v[0:1], v[0:1], v[2:3]
	v_pk_add_f32 v[2:3], v[182:183], v[10:11]
	v_pk_add_f32 v[8:9], v[182:183], v[10:11] neg_lo:[0,1] neg_hi:[0,1]
	v_pk_fma_f32 v[2:3], v[2:3], 0.5, v[16:17] op_sel_hi:[1,0,1] neg_lo:[1,0,0] neg_hi:[1,0,0]
	v_pk_add_f32 v[12:13], v[16:17], v[186:187]
	v_pk_fma_f32 v[6:7], v[4:5], s[2:3], v[2:3] op_sel:[1,0,0] op_sel_hi:[0,0,1]
	v_pk_fma_f32 v[2:3], v[4:5], s[2:3], v[2:3] op_sel:[1,0,0] op_sel_hi:[0,0,1] neg_lo:[1,0,0] neg_hi:[1,0,0]
	v_pk_fma_f32 v[2:3], v[8:9], s[6:7], v[2:3] op_sel:[1,0,0] op_sel_hi:[0,0,1] neg_lo:[1,0,0] neg_hi:[1,0,0]
	v_pk_fma_f32 v[6:7], v[8:9], s[6:7], v[6:7] op_sel:[1,0,0] op_sel_hi:[0,0,1]
	v_pk_add_f32 v[12:13], v[12:13], v[182:183]
	v_mov_b32_e32 v15, v3
	v_pk_add_f32 v[12:13], v[12:13], v[10:11]
	v_mov_b32_e32 v3, v7
	v_pk_add_f32 v[12:13], v[12:13], v[120:121]
	v_pk_fma_f32 v[2:3], v[0:1], s[8:9], v[2:3] op_sel_hi:[1,0,1]
	ds_write2_b64 v145, v[12:13], v[2:3] offset1:5
	v_pk_add_f32 v[2:3], v[186:187], v[120:121]
	v_pk_add_f32 v[12:13], v[182:183], v[186:187] neg_lo:[0,1] neg_hi:[0,1]
	v_pk_fma_f32 v[2:3], v[2:3], 0.5, v[16:17] op_sel_hi:[1,0,1] neg_lo:[1,0,0] neg_hi:[1,0,0]
	v_pk_add_f32 v[10:11], v[10:11], v[120:121] neg_lo:[0,1] neg_hi:[0,1]
	v_mov_b32_e32 v14, v6
	v_pk_add_f32 v[10:11], v[12:13], v[10:11]
	v_pk_fma_f32 v[12:13], v[8:9], s[2:3], v[2:3] op_sel:[1,0,0] op_sel_hi:[0,0,1] neg_lo:[1,0,0] neg_hi:[1,0,0]
	v_pk_fma_f32 v[2:3], v[8:9], s[2:3], v[2:3] op_sel:[1,0,0] op_sel_hi:[0,0,1]
	v_pk_fma_f32 v[2:3], v[4:5], s[6:7], v[2:3] op_sel:[1,0,0] op_sel_hi:[0,0,1] neg_lo:[1,0,0] neg_hi:[1,0,0]
	v_pk_fma_f32 v[4:5], v[4:5], s[6:7], v[12:13] op_sel:[1,0,0] op_sel_hi:[0,0,1]
	v_mov_b32_e32 v8, v4
	v_mov_b32_e32 v9, v3
	;; [unrolled: 1-line block ×3, first 2 shown]
	v_pk_fma_f32 v[4:5], v[10:11], s[8:9], v[8:9] op_sel_hi:[1,0,1]
	v_pk_fma_f32 v[2:3], v[10:11], s[8:9], v[2:3] op_sel_hi:[1,0,1]
	;; [unrolled: 1-line block ×3, first 2 shown]
	ds_write2_b64 v145, v[2:3], v[4:5] offset0:10 offset1:15
	ds_write_b64 v145, v[0:1] offset:160
	s_waitcnt lgkmcnt(0)
	s_barrier
	ds_read_b64 v[2:3], v125 offset:14000
	ds_read2_b64 v[4:7], v127 offset0:98 offset1:223
	s_waitcnt lgkmcnt(1)
	v_pk_mul_f32 v[8:9], v[160:161], v[2:3] op_sel_hi:[0,1]
	v_pk_fma_f32 v[0:1], v[50:51], v[2:3], v[8:9] op_sel:[0,0,1] op_sel_hi:[1,1,0]
	v_pk_fma_f32 v[12:13], v[50:51], v[2:3], v[8:9] op_sel:[0,0,1] op_sel_hi:[0,1,0] neg_lo:[0,0,1] neg_hi:[0,0,1]
	ds_read2_b64 v[8:11], v131 offset0:92 offset1:217
	s_waitcnt lgkmcnt(1)
	v_pk_mul_f32 v[14:15], v[48:49], v[6:7] op_sel:[1,0]
	v_mov_b32_e32 v1, v13
	v_pk_fma_f32 v[2:3], v[48:49], v[6:7], v[14:15] op_sel:[0,0,1] op_sel_hi:[1,1,0]
	v_pk_fma_f32 v[14:15], v[48:49], v[6:7], v[14:15] op_sel:[0,0,1] op_sel_hi:[0,1,0] neg_lo:[0,0,1] neg_hi:[0,0,1]
	v_pk_mul_f32 v[6:7], v[40:41], v[4:5] op_sel:[1,0]
	s_waitcnt lgkmcnt(0)
	v_pk_mul_f32 v[28:29], v[144:145], v[10:11] op_sel_hi:[0,1]
	v_pk_fma_f32 v[16:17], v[40:41], v[4:5], v[6:7] op_sel:[0,0,1] op_sel_hi:[1,1,0]
	v_pk_fma_f32 v[18:19], v[40:41], v[4:5], v[6:7] op_sel:[0,0,1] op_sel_hi:[0,1,0] neg_lo:[0,0,1] neg_hi:[0,0,1]
	ds_read2_b64 v[4:7], v137 offset0:104 offset1:229
	v_pk_fma_f32 v[30:31], v[42:43], v[10:11], v[28:29] op_sel:[0,0,1] op_sel_hi:[1,1,0]
	v_pk_fma_f32 v[28:29], v[42:43], v[10:11], v[28:29] op_sel:[0,0,1] op_sel_hi:[0,1,0] neg_lo:[0,0,1] neg_hi:[0,0,1]
	v_pk_mul_f32 v[10:11], v[140:141], v[8:9] op_sel_hi:[0,1]
	v_pk_fma_f32 v[40:41], v[54:55], v[8:9], v[10:11] op_sel:[0,0,1] op_sel_hi:[1,1,0]
	v_pk_fma_f32 v[42:43], v[54:55], v[8:9], v[10:11] op_sel:[0,0,1] op_sel_hi:[0,1,0] neg_lo:[0,0,1] neg_hi:[0,0,1]
	ds_read2_b64 v[8:11], v129 offset0:116 offset1:241
	s_waitcnt lgkmcnt(1)
	v_pk_mul_f32 v[48:49], v[52:53], v[6:7] op_sel:[1,0]
	v_mov_b32_e32 v41, v43
	v_pk_fma_f32 v[50:51], v[52:53], v[6:7], v[48:49] op_sel:[0,0,1] op_sel_hi:[1,1,0]
	v_pk_fma_f32 v[48:49], v[52:53], v[6:7], v[48:49] op_sel:[0,0,1] op_sel_hi:[0,1,0] neg_lo:[0,0,1] neg_hi:[0,0,1]
	v_pk_mul_f32 v[6:7], v[138:139], v[4:5] op_sel_hi:[0,1]
	v_pk_fma_f32 v[52:53], v[22:23], v[4:5], v[6:7] op_sel:[0,0,1] op_sel_hi:[1,1,0]
	v_pk_fma_f32 v[54:55], v[22:23], v[4:5], v[6:7] op_sel:[0,0,1] op_sel_hi:[0,1,0] neg_lo:[0,0,1] neg_hi:[0,0,1]
	s_waitcnt lgkmcnt(0)
	v_pk_mul_f32 v[120:121], v[20:21], v[10:11] op_sel:[1,0]
	ds_read2_b64 v[4:7], v135 offset0:110 offset1:235
	v_pk_fma_f32 v[132:133], v[20:21], v[10:11], v[120:121] op_sel:[0,0,1] op_sel_hi:[1,1,0]
	v_pk_fma_f32 v[20:21], v[20:21], v[10:11], v[120:121] op_sel:[0,0,1] op_sel_hi:[0,1,0] neg_lo:[0,0,1] neg_hi:[0,0,1]
	v_pk_mul_f32 v[10:11], v[24:25], v[8:9] op_sel:[1,0]
	v_mov_b32_e32 v51, v49
	v_pk_fma_f32 v[120:121], v[24:25], v[8:9], v[10:11] op_sel:[0,0,1] op_sel_hi:[1,1,0]
	v_pk_fma_f32 v[24:25], v[24:25], v[8:9], v[10:11] op_sel:[0,0,1] op_sel_hi:[0,1,0] neg_lo:[0,0,1] neg_hi:[0,0,1]
	ds_read2_b64 v[8:11], v139 offset0:122 offset1:247
	s_waitcnt lgkmcnt(1)
	v_pk_mul_f32 v[140:141], v[136:137], v[6:7] op_sel_hi:[0,1]
	v_pk_fma_f32 v[144:145], v[26:27], v[6:7], v[140:141] op_sel:[0,0,1] op_sel_hi:[1,1,0]
	v_pk_fma_f32 v[26:27], v[26:27], v[6:7], v[140:141] op_sel:[0,0,1] op_sel_hi:[0,1,0] neg_lo:[0,0,1] neg_hi:[0,0,1]
	v_pk_mul_f32 v[6:7], v[134:135], v[4:5] op_sel_hi:[0,1]
	v_pk_fma_f32 v[140:141], v[34:35], v[4:5], v[6:7] op_sel:[0,0,1] op_sel_hi:[1,1,0]
	v_pk_fma_f32 v[4:5], v[34:35], v[4:5], v[6:7] op_sel:[0,0,1] op_sel_hi:[0,1,0] neg_lo:[0,0,1] neg_hi:[0,0,1]
	s_waitcnt lgkmcnt(0)
	v_pk_mul_f32 v[6:7], v[32:33], v[10:11] op_sel:[1,0]
	v_mov_b32_e32 v141, v5
	v_pk_fma_f32 v[34:35], v[32:33], v[10:11], v[6:7] op_sel:[0,0,1] op_sel_hi:[1,1,0]
	v_pk_fma_f32 v[6:7], v[32:33], v[10:11], v[6:7] op_sel:[0,0,1] op_sel_hi:[0,1,0] neg_lo:[0,0,1] neg_hi:[0,0,1]
	v_mov_b32_e32 v35, v7
	ds_read2_b64 v[4:7], v125 offset1:125
	v_pk_add_f32 v[10:11], v[34:35], v[140:141] neg_lo:[0,1] neg_hi:[0,1]
	v_pk_add_f32 v[32:33], v[40:41], v[50:51] neg_lo:[0,1] neg_hi:[0,1]
	;; [unrolled: 1-line block ×3, first 2 shown]
	v_pk_add_f32 v[10:11], v[10:11], v[32:33]
	v_pk_add_f32 v[32:33], v[140:141], v[50:51]
	v_pk_mul_f32 v[48:49], v[42:43], s[2:3] op_sel_hi:[1,0]
	s_waitcnt lgkmcnt(0)
	v_pk_fma_f32 v[32:33], v[32:33], 0.5, v[4:5] op_sel_hi:[1,0,1] neg_lo:[1,0,0] neg_hi:[1,0,0]
	s_nop 0
	v_pk_add_f32 v[150:151], v[32:33], v[48:49] op_sel:[0,1] op_sel_hi:[1,0] neg_lo:[0,1] neg_hi:[0,1]
	v_pk_add_f32 v[32:33], v[32:33], v[48:49] op_sel:[0,1] op_sel_hi:[1,0]
	v_pk_add_f32 v[48:49], v[140:141], v[50:51] neg_lo:[0,1] neg_hi:[0,1]
	s_barrier
	v_pk_mul_f32 v[160:161], v[48:49], s[6:7] op_sel_hi:[1,0]
	s_nop 0
	v_pk_add_f32 v[32:33], v[32:33], v[160:161] op_sel:[0,1] op_sel_hi:[1,0]
	v_pk_add_f32 v[150:151], v[150:151], v[160:161] op_sel:[0,1] op_sel_hi:[1,0] neg_lo:[0,1] neg_hi:[0,1]
	v_pk_add_f32 v[160:161], v[4:5], v[34:35]
	v_mov_b32_e32 v167, v33
	v_pk_add_f32 v[160:161], v[160:161], v[140:141]
	v_pk_add_f32 v[140:141], v[140:141], v[34:35] neg_lo:[0,1] neg_hi:[0,1]
	v_pk_add_f32 v[34:35], v[34:35], v[40:41]
	v_pk_add_f32 v[160:161], v[160:161], v[50:51]
	v_pk_fma_f32 v[4:5], v[34:35], 0.5, v[4:5] op_sel_hi:[1,0,1] neg_lo:[1,0,0] neg_hi:[1,0,0]
	v_pk_mul_f32 v[34:35], v[48:49], s[2:3] op_sel_hi:[1,0]
	v_pk_add_f32 v[160:161], v[160:161], v[40:41]
	v_pk_add_f32 v[48:49], v[4:5], v[34:35] op_sel:[0,1] op_sel_hi:[1,0]
	v_pk_add_f32 v[4:5], v[4:5], v[34:35] op_sel:[0,1] op_sel_hi:[1,0] neg_lo:[0,1] neg_hi:[0,1]
	v_pk_mul_f32 v[34:35], v[42:43], s[6:7] op_sel_hi:[1,0]
	v_pk_add_f32 v[40:41], v[50:51], v[40:41] neg_lo:[0,1] neg_hi:[0,1]
	v_pk_add_f32 v[4:5], v[4:5], v[34:35] op_sel:[0,1] op_sel_hi:[1,0]
	v_pk_add_f32 v[34:35], v[48:49], v[34:35] op_sel:[0,1] op_sel_hi:[1,0] neg_lo:[0,1] neg_hi:[0,1]
	v_pk_add_f32 v[40:41], v[140:141], v[40:41]
	v_mov_b32_e32 v42, v34
	v_mov_b32_e32 v43, v5
	;; [unrolled: 1-line block ×3, first 2 shown]
	v_pk_fma_f32 v[34:35], v[40:41], s[8:9], v[42:43] op_sel_hi:[1,0,1]
	v_pk_fma_f32 v[4:5], v[40:41], s[8:9], v[4:5] op_sel_hi:[1,0,1]
	v_mov_b32_e32 v33, v151
	v_mov_b32_e32 v166, v150
	ds_write2_b64 v23, v[34:35], v[4:5] offset0:50 offset1:75
	v_pk_fma_f32 v[4:5], v[10:11], s[8:9], v[32:33] op_sel_hi:[1,0,1]
	v_mov_b32_e32 v121, v25
	v_mov_b32_e32 v145, v27
	;; [unrolled: 1-line block ×4, first 2 shown]
	v_pk_fma_f32 v[166:167], v[10:11], s[8:9], v[166:167] op_sel_hi:[1,0,1]
	ds_write_b64 v23, v[4:5] offset:800
	v_pk_add_f32 v[4:5], v[120:121], v[144:145] neg_lo:[0,1] neg_hi:[0,1]
	v_pk_add_f32 v[10:11], v[30:31], v[16:17] neg_lo:[0,1] neg_hi:[0,1]
	;; [unrolled: 1-line block ×3, first 2 shown]
	v_pk_add_f32 v[4:5], v[4:5], v[10:11]
	v_pk_add_f32 v[10:11], v[144:145], v[16:17]
	ds_write2_b64 v23, v[160:161], v[166:167] offset1:25
	v_pk_fma_f32 v[10:11], v[10:11], 0.5, v[6:7] op_sel_hi:[1,0,1] neg_lo:[1,0,0] neg_hi:[1,0,0]
	v_pk_mul_f32 v[22:23], v[18:19], s[2:3] op_sel_hi:[1,0]
	v_pk_mul_f32 v[18:19], v[18:19], s[6:7] op_sel_hi:[1,0]
	v_pk_add_f32 v[24:25], v[10:11], v[22:23] op_sel:[0,1] op_sel_hi:[1,0] neg_lo:[0,1] neg_hi:[0,1]
	v_pk_add_f32 v[10:11], v[10:11], v[22:23] op_sel:[0,1] op_sel_hi:[1,0]
	v_pk_add_f32 v[22:23], v[144:145], v[16:17] neg_lo:[0,1] neg_hi:[0,1]
	v_mov_b32_e32 v133, v21
	v_pk_mul_f32 v[26:27], v[22:23], s[6:7] op_sel_hi:[1,0]
	v_pk_mul_f32 v[22:23], v[22:23], s[2:3] op_sel_hi:[1,0]
	v_pk_add_f32 v[10:11], v[10:11], v[26:27] op_sel:[0,1] op_sel_hi:[1,0]
	v_pk_add_f32 v[24:25], v[24:25], v[26:27] op_sel:[0,1] op_sel_hi:[1,0] neg_lo:[0,1] neg_hi:[0,1]
	v_pk_add_f32 v[26:27], v[6:7], v[120:121]
	v_mov_b32_e32 v28, v24
	v_pk_add_f32 v[26:27], v[26:27], v[144:145]
	v_mov_b32_e32 v29, v11
	v_pk_add_f32 v[26:27], v[26:27], v[16:17]
	v_pk_fma_f32 v[28:29], v[4:5], s[8:9], v[28:29] op_sel_hi:[1,0,1]
	v_pk_add_f32 v[26:27], v[26:27], v[30:31]
	ds_write2_b64 v147, v[26:27], v[28:29] offset1:25
	v_pk_add_f32 v[26:27], v[120:121], v[30:31]
	v_pk_add_f32 v[16:17], v[16:17], v[30:31] neg_lo:[0,1] neg_hi:[0,1]
	v_pk_fma_f32 v[6:7], v[26:27], 0.5, v[6:7] op_sel_hi:[1,0,1] neg_lo:[1,0,0] neg_hi:[1,0,0]
	v_pk_add_f32 v[26:27], v[144:145], v[120:121] neg_lo:[0,1] neg_hi:[0,1]
	v_mov_b32_e32 v11, v25
	v_pk_add_f32 v[16:17], v[26:27], v[16:17]
	v_pk_add_f32 v[26:27], v[6:7], v[22:23] op_sel:[0,1] op_sel_hi:[1,0]
	v_pk_add_f32 v[6:7], v[6:7], v[22:23] op_sel:[0,1] op_sel_hi:[1,0] neg_lo:[0,1] neg_hi:[0,1]
	v_pk_fma_f32 v[4:5], v[4:5], s[8:9], v[10:11] op_sel_hi:[1,0,1]
	v_pk_add_f32 v[6:7], v[6:7], v[18:19] op_sel:[0,1] op_sel_hi:[1,0]
	v_pk_add_f32 v[18:19], v[26:27], v[18:19] op_sel:[0,1] op_sel_hi:[1,0] neg_lo:[0,1] neg_hi:[0,1]
	v_mov_b32_e32 v23, v7
	v_mov_b32_e32 v22, v18
	;; [unrolled: 1-line block ×3, first 2 shown]
	v_pk_fma_f32 v[18:19], v[16:17], s[8:9], v[22:23] op_sel_hi:[1,0,1]
	v_pk_fma_f32 v[6:7], v[16:17], s[8:9], v[6:7] op_sel_hi:[1,0,1]
	v_mov_b32_e32 v53, v55
	v_mov_b32_e32 v3, v15
	ds_write2_b64 v147, v[18:19], v[6:7] offset0:50 offset1:75
	ds_write_b64 v147, v[4:5] offset:800
	v_pk_add_f32 v[4:5], v[132:133], v[52:53] neg_lo:[0,1] neg_hi:[0,1]
	v_pk_add_f32 v[6:7], v[0:1], v[2:3] neg_lo:[0,1] neg_hi:[0,1]
	;; [unrolled: 1-line block ×3, first 2 shown]
	v_pk_add_f32 v[4:5], v[4:5], v[6:7]
	v_pk_add_f32 v[6:7], v[52:53], v[2:3]
	v_pk_add_f32 v[14:15], v[52:53], v[2:3] neg_lo:[0,1] neg_hi:[0,1]
	v_pk_fma_f32 v[6:7], v[6:7], 0.5, v[8:9] op_sel_hi:[1,0,1] neg_lo:[1,0,0] neg_hi:[1,0,0]
	v_pk_add_f32 v[16:17], v[8:9], v[132:133]
	v_pk_fma_f32 v[12:13], v[10:11], s[2:3], v[6:7] op_sel:[1,0,0] op_sel_hi:[0,0,1]
	v_pk_fma_f32 v[6:7], v[10:11], s[2:3], v[6:7] op_sel:[1,0,0] op_sel_hi:[0,0,1] neg_lo:[1,0,0] neg_hi:[1,0,0]
	v_pk_fma_f32 v[6:7], v[14:15], s[6:7], v[6:7] op_sel:[1,0,0] op_sel_hi:[0,0,1] neg_lo:[1,0,0] neg_hi:[1,0,0]
	v_pk_fma_f32 v[12:13], v[14:15], s[6:7], v[12:13] op_sel:[1,0,0] op_sel_hi:[0,0,1]
	v_pk_add_f32 v[16:17], v[16:17], v[52:53]
	v_mov_b32_e32 v19, v7
	v_pk_add_f32 v[16:17], v[16:17], v[2:3]
	v_mov_b32_e32 v7, v13
	v_pk_add_f32 v[16:17], v[16:17], v[0:1]
	v_pk_fma_f32 v[6:7], v[4:5], s[8:9], v[6:7] op_sel_hi:[1,0,1]
	ds_write2_b64 v149, v[16:17], v[6:7] offset1:25
	v_pk_add_f32 v[6:7], v[132:133], v[0:1]
	v_pk_add_f32 v[0:1], v[2:3], v[0:1] neg_lo:[0,1] neg_hi:[0,1]
	v_pk_fma_f32 v[6:7], v[6:7], 0.5, v[8:9] op_sel_hi:[1,0,1] neg_lo:[1,0,0] neg_hi:[1,0,0]
	v_pk_add_f32 v[8:9], v[52:53], v[132:133] neg_lo:[0,1] neg_hi:[0,1]
	v_pk_fma_f32 v[2:3], v[14:15], s[2:3], v[6:7] op_sel:[1,0,0] op_sel_hi:[0,0,1] neg_lo:[1,0,0] neg_hi:[1,0,0]
	v_pk_fma_f32 v[6:7], v[14:15], s[2:3], v[6:7] op_sel:[1,0,0] op_sel_hi:[0,0,1]
	v_pk_fma_f32 v[6:7], v[10:11], s[6:7], v[6:7] op_sel:[1,0,0] op_sel_hi:[0,0,1] neg_lo:[1,0,0] neg_hi:[1,0,0]
	v_pk_fma_f32 v[2:3], v[10:11], s[6:7], v[2:3] op_sel:[1,0,0] op_sel_hi:[0,0,1]
	v_pk_add_f32 v[0:1], v[8:9], v[0:1]
	v_mov_b32_e32 v8, v2
	v_mov_b32_e32 v9, v7
	;; [unrolled: 1-line block ×3, first 2 shown]
	v_pk_fma_f32 v[2:3], v[0:1], s[8:9], v[8:9] op_sel_hi:[1,0,1]
	v_pk_fma_f32 v[0:1], v[0:1], s[8:9], v[6:7] op_sel_hi:[1,0,1]
	v_mov_b32_e32 v18, v12
	ds_write2_b64 v149, v[0:1], v[2:3] offset0:50 offset1:75
	v_pk_fma_f32 v[0:1], v[4:5], s[8:9], v[18:19] op_sel_hi:[1,0,1]
	ds_write_b64 v149, v[0:1] offset:800
	s_waitcnt lgkmcnt(0)
	s_barrier
	ds_read_b64 v[4:5], v125 offset:14000
	ds_read2_b64 v[0:3], v127 offset0:98 offset1:223
	s_waitcnt lgkmcnt(1)
	v_pk_mul_f32 v[6:7], v[162:163], v[4:5] op_sel_hi:[0,1]
	v_pk_fma_f32 v[8:9], v[66:67], v[4:5], v[6:7] op_sel:[0,0,1] op_sel_hi:[1,1,0]
	v_pk_fma_f32 v[10:11], v[66:67], v[4:5], v[6:7] op_sel:[0,0,1] op_sel_hi:[0,1,0] neg_lo:[0,0,1] neg_hi:[0,0,1]
	ds_read2_b64 v[4:7], v131 offset0:92 offset1:217
	s_waitcnt lgkmcnt(1)
	v_pk_mul_f32 v[12:13], v[64:65], v[2:3] op_sel:[1,0]
	v_mov_b32_e32 v9, v11
	v_pk_fma_f32 v[14:15], v[64:65], v[2:3], v[12:13] op_sel:[0,0,1] op_sel_hi:[1,1,0]
	v_pk_fma_f32 v[12:13], v[64:65], v[2:3], v[12:13] op_sel:[0,0,1] op_sel_hi:[0,1,0] neg_lo:[0,0,1] neg_hi:[0,0,1]
	v_pk_mul_f32 v[2:3], v[36:37], v[0:1] op_sel:[1,0]
	s_waitcnt lgkmcnt(0)
	v_pk_mul_f32 v[20:21], v[148:149], v[4:5] op_sel_hi:[0,1]
	v_pk_fma_f32 v[16:17], v[36:37], v[0:1], v[2:3] op_sel:[0,0,1] op_sel_hi:[1,1,0]
	v_pk_fma_f32 v[18:19], v[36:37], v[0:1], v[2:3] op_sel:[0,0,1] op_sel_hi:[0,1,0] neg_lo:[0,0,1] neg_hi:[0,0,1]
	ds_read2_b64 v[0:3], v137 offset0:104 offset1:229
	v_pk_fma_f32 v[22:23], v[38:39], v[4:5], v[20:21] op_sel:[0,0,1] op_sel_hi:[1,1,0]
	v_pk_fma_f32 v[20:21], v[38:39], v[4:5], v[20:21] op_sel:[0,0,1] op_sel_hi:[0,1,0] neg_lo:[0,0,1] neg_hi:[0,0,1]
	v_pk_mul_f32 v[4:5], v[148:149], v[6:7] op_sel_hi:[0,1]
	v_pk_fma_f32 v[24:25], v[38:39], v[6:7], v[4:5] op_sel:[0,0,1] op_sel_hi:[1,1,0]
	v_pk_fma_f32 v[26:27], v[38:39], v[6:7], v[4:5] op_sel:[0,0,1] op_sel_hi:[0,1,0] neg_lo:[0,0,1] neg_hi:[0,0,1]
	ds_read2_b64 v[4:7], v129 offset0:116 offset1:241
	s_waitcnt lgkmcnt(1)
	v_pk_mul_f32 v[28:29], v[36:37], v[2:3] op_sel:[1,0]
	v_mov_b32_e32 v23, v21
	v_pk_fma_f32 v[30:31], v[36:37], v[2:3], v[28:29] op_sel:[0,0,1] op_sel_hi:[1,1,0]
	v_pk_fma_f32 v[28:29], v[36:37], v[2:3], v[28:29] op_sel:[0,0,1] op_sel_hi:[0,1,0] neg_lo:[0,0,1] neg_hi:[0,0,1]
	v_pk_mul_f32 v[2:3], v[146:147], v[0:1] op_sel_hi:[0,1]
	v_pk_fma_f32 v[32:33], v[46:47], v[0:1], v[2:3] op_sel:[0,0,1] op_sel_hi:[1,1,0]
	v_pk_fma_f32 v[34:35], v[46:47], v[0:1], v[2:3] op_sel:[0,0,1] op_sel_hi:[0,1,0] neg_lo:[0,0,1] neg_hi:[0,0,1]
	s_waitcnt lgkmcnt(0)
	v_pk_mul_f32 v[36:37], v[44:45], v[6:7] op_sel:[1,0]
	ds_read2_b64 v[0:3], v135 offset0:110 offset1:235
	v_pk_fma_f32 v[40:41], v[44:45], v[6:7], v[36:37] op_sel:[0,0,1] op_sel_hi:[1,1,0]
	v_pk_fma_f32 v[36:37], v[44:45], v[6:7], v[36:37] op_sel:[0,0,1] op_sel_hi:[0,1,0] neg_lo:[0,0,1] neg_hi:[0,0,1]
	v_pk_mul_f32 v[6:7], v[56:57], v[4:5] op_sel:[1,0]
	v_mov_b32_e32 v31, v29
	v_pk_fma_f32 v[42:43], v[56:57], v[4:5], v[6:7] op_sel:[0,0,1] op_sel_hi:[1,1,0]
	v_pk_fma_f32 v[44:45], v[56:57], v[4:5], v[6:7] op_sel:[0,0,1] op_sel_hi:[0,1,0] neg_lo:[0,0,1] neg_hi:[0,0,1]
	ds_read2_b64 v[4:7], v139 offset0:122 offset1:247
	s_waitcnt lgkmcnt(1)
	v_pk_mul_f32 v[48:49], v[142:143], v[0:1] op_sel_hi:[0,1]
	v_pk_fma_f32 v[50:51], v[58:59], v[0:1], v[48:49] op_sel:[0,0,1] op_sel_hi:[1,1,0]
	v_pk_fma_f32 v[0:1], v[58:59], v[0:1], v[48:49] op_sel:[0,0,1] op_sel_hi:[0,1,0] neg_lo:[0,0,1] neg_hi:[0,0,1]
	v_pk_mul_f32 v[48:49], v[142:143], v[2:3] op_sel_hi:[0,1]
	v_pk_fma_f32 v[52:53], v[58:59], v[2:3], v[48:49] op_sel:[0,0,1] op_sel_hi:[1,1,0]
	v_pk_fma_f32 v[48:49], v[58:59], v[2:3], v[48:49] op_sel:[0,0,1] op_sel_hi:[0,1,0] neg_lo:[0,0,1] neg_hi:[0,0,1]
	s_waitcnt lgkmcnt(0)
	v_pk_mul_f32 v[2:3], v[56:57], v[6:7] op_sel:[1,0]
	v_mov_b32_e32 v51, v1
	v_pk_fma_f32 v[54:55], v[56:57], v[6:7], v[2:3] op_sel:[0,0,1] op_sel_hi:[1,1,0]
	v_pk_fma_f32 v[2:3], v[56:57], v[6:7], v[2:3] op_sel:[0,0,1] op_sel_hi:[0,1,0] neg_lo:[0,0,1] neg_hi:[0,0,1]
	v_mov_b32_e32 v55, v3
	ds_read2_b64 v[0:3], v125 offset1:125
	v_pk_add_f32 v[6:7], v[54:55], v[50:51] neg_lo:[0,1] neg_hi:[0,1]
	v_pk_add_f32 v[20:21], v[22:23], v[30:31] neg_lo:[0,1] neg_hi:[0,1]
	;; [unrolled: 1-line block ×3, first 2 shown]
	v_pk_add_f32 v[6:7], v[6:7], v[20:21]
	v_pk_add_f32 v[20:21], v[50:51], v[30:31]
	v_pk_mul_f32 v[56:57], v[28:29], s[2:3] op_sel_hi:[1,0]
	s_waitcnt lgkmcnt(0)
	v_pk_fma_f32 v[20:21], v[20:21], 0.5, v[0:1] op_sel_hi:[1,0,1] neg_lo:[1,0,0] neg_hi:[1,0,0]
	v_pk_mul_f32 v[28:29], v[28:29], s[6:7] op_sel_hi:[1,0]
	v_pk_add_f32 v[64:65], v[20:21], v[56:57] op_sel:[0,1] op_sel_hi:[1,0] neg_lo:[0,1] neg_hi:[0,1]
	v_pk_add_f32 v[20:21], v[20:21], v[56:57] op_sel:[0,1] op_sel_hi:[1,0]
	v_pk_add_f32 v[56:57], v[50:51], v[30:31] neg_lo:[0,1] neg_hi:[0,1]
	v_mov_b32_e32 v43, v45
	v_pk_mul_f32 v[66:67], v[56:57], s[6:7] op_sel_hi:[1,0]
	s_nop 0
	v_pk_add_f32 v[20:21], v[20:21], v[66:67] op_sel:[0,1] op_sel_hi:[1,0]
	v_pk_add_f32 v[64:65], v[64:65], v[66:67] op_sel:[0,1] op_sel_hi:[1,0] neg_lo:[0,1] neg_hi:[0,1]
	v_pk_add_f32 v[66:67], v[0:1], v[54:55]
	v_mov_b32_e32 v120, v64
	v_pk_add_f32 v[66:67], v[66:67], v[50:51]
	v_pk_add_f32 v[50:51], v[50:51], v[54:55] neg_lo:[0,1] neg_hi:[0,1]
	v_pk_add_f32 v[66:67], v[66:67], v[30:31]
	v_pk_add_f32 v[54:55], v[54:55], v[22:23]
	;; [unrolled: 1-line block ×3, first 2 shown]
	v_pk_add_f32 v[22:23], v[30:31], v[22:23] neg_lo:[0,1] neg_hi:[0,1]
	v_pk_fma_f32 v[0:1], v[54:55], 0.5, v[0:1] op_sel_hi:[1,0,1] neg_lo:[1,0,0] neg_hi:[1,0,0]
	v_pk_mul_f32 v[30:31], v[56:57], s[2:3] op_sel_hi:[1,0]
	v_pk_add_f32 v[22:23], v[50:51], v[22:23]
	v_pk_add_f32 v[50:51], v[0:1], v[30:31] op_sel:[0,1] op_sel_hi:[1,0]
	v_pk_add_f32 v[0:1], v[0:1], v[30:31] op_sel:[0,1] op_sel_hi:[1,0] neg_lo:[0,1] neg_hi:[0,1]
	v_mov_b32_e32 v121, v21
	v_pk_add_f32 v[0:1], v[0:1], v[28:29] op_sel:[0,1] op_sel_hi:[1,0]
	v_pk_add_f32 v[28:29], v[50:51], v[28:29] op_sel:[0,1] op_sel_hi:[1,0] neg_lo:[0,1] neg_hi:[0,1]
	v_mov_b32_e32 v31, v1
	v_mov_b32_e32 v30, v28
	;; [unrolled: 1-line block ×3, first 2 shown]
	v_pk_fma_f32 v[28:29], v[22:23], s[8:9], v[30:31] op_sel_hi:[1,0,1]
	v_pk_fma_f32 v[0:1], v[22:23], s[8:9], v[0:1] op_sel_hi:[1,0,1]
	v_mov_b32_e32 v21, v65
	v_pk_fma_f32 v[120:121], v[6:7], s[8:9], v[120:121] op_sel_hi:[1,0,1]
	s_barrier
	ds_write2_b64 v139, v[28:29], v[0:1] offset0:122 offset1:247
	v_pk_fma_f32 v[0:1], v[6:7], s[8:9], v[20:21] op_sel_hi:[1,0,1]
	v_mov_b32_e32 v53, v49
	v_pk_add_f32 v[6:7], v[2:3], v[42:43]
	v_mov_b32_e32 v17, v19
	v_pk_add_f32 v[6:7], v[6:7], v[52:53]
	;; [unrolled: 2-line block ×3, first 2 shown]
	v_pk_add_f32 v[18:19], v[24:25], v[16:17] neg_lo:[0,1] neg_hi:[0,1]
	v_pk_add_f32 v[6:7], v[6:7], v[24:25]
	ds_write2_b64 v129, v[0:1], v[6:7] offset0:116 offset1:241
	v_pk_add_f32 v[0:1], v[52:53], v[16:17]
	v_pk_add_f32 v[6:7], v[42:43], v[24:25]
	v_pk_fma_f32 v[0:1], v[0:1], 0.5, v[2:3] op_sel_hi:[1,0,1] neg_lo:[1,0,0] neg_hi:[1,0,0]
	v_pk_fma_f32 v[2:3], v[6:7], 0.5, v[2:3] op_sel_hi:[1,0,1] neg_lo:[1,0,0] neg_hi:[1,0,0]
	v_pk_add_f32 v[6:7], v[42:43], v[52:53] neg_lo:[0,1] neg_hi:[0,1]
	v_pk_add_f32 v[20:21], v[52:53], v[42:43] neg_lo:[0,1] neg_hi:[0,1]
	v_pk_add_f32 v[6:7], v[6:7], v[18:19]
	v_pk_add_f32 v[18:19], v[42:43], v[24:25] neg_lo:[0,1] neg_hi:[0,1]
	v_pk_add_f32 v[22:23], v[52:53], v[16:17] neg_lo:[0,1] neg_hi:[0,1]
	;; [unrolled: 1-line block ×3, first 2 shown]
	v_pk_fma_f32 v[24:25], v[22:23], s[2:3], v[2:3] op_sel:[1,0,0] op_sel_hi:[0,0,1] neg_lo:[1,0,0] neg_hi:[1,0,0]
	v_pk_add_f32 v[16:17], v[20:21], v[16:17]
	v_pk_fma_f32 v[20:21], v[18:19], s[2:3], v[0:1] op_sel:[1,0,0] op_sel_hi:[0,0,1]
	v_pk_fma_f32 v[0:1], v[18:19], s[2:3], v[0:1] op_sel:[1,0,0] op_sel_hi:[0,0,1] neg_lo:[1,0,0] neg_hi:[1,0,0]
	v_pk_fma_f32 v[2:3], v[22:23], s[2:3], v[2:3] op_sel:[1,0,0] op_sel_hi:[0,0,1]
	v_pk_fma_f32 v[0:1], v[22:23], s[6:7], v[0:1] op_sel:[1,0,0] op_sel_hi:[0,0,1] neg_lo:[1,0,0] neg_hi:[1,0,0]
	;; [unrolled: 2-line block ×3, first 2 shown]
	v_pk_fma_f32 v[18:19], v[18:19], s[6:7], v[24:25] op_sel:[1,0,0] op_sel_hi:[0,0,1]
	v_mov_b32_e32 v23, v1
	v_mov_b32_e32 v1, v21
	;; [unrolled: 1-line block ×4, first 2 shown]
	v_pk_fma_f32 v[0:1], v[6:7], s[8:9], v[0:1] op_sel_hi:[1,0,1]
	v_pk_fma_f32 v[2:3], v[16:17], s[8:9], v[2:3] op_sel_hi:[1,0,1]
	v_mov_b32_e32 v22, v20
	v_mov_b32_e32 v20, v18
	ds_write2_b64 v135, v[0:1], v[2:3] offset0:110 offset1:235
	v_pk_fma_f32 v[0:1], v[6:7], s[8:9], v[22:23] op_sel_hi:[1,0,1]
	v_pk_fma_f32 v[2:3], v[16:17], s[8:9], v[20:21] op_sel_hi:[1,0,1]
	v_mov_b32_e32 v41, v37
	v_mov_b32_e32 v33, v35
	;; [unrolled: 1-line block ×3, first 2 shown]
	ds_write2_b64 v137, v[2:3], v[0:1] offset0:104 offset1:229
	v_pk_add_f32 v[0:1], v[40:41], v[32:33] neg_lo:[0,1] neg_hi:[0,1]
	v_pk_add_f32 v[2:3], v[8:9], v[14:15] neg_lo:[0,1] neg_hi:[0,1]
	v_pk_add_f32 v[6:7], v[40:41], v[8:9] neg_lo:[0,1] neg_hi:[0,1]
	v_pk_add_f32 v[0:1], v[0:1], v[2:3]
	v_pk_add_f32 v[2:3], v[32:33], v[14:15]
	v_pk_add_f32 v[12:13], v[32:33], v[14:15] neg_lo:[0,1] neg_hi:[0,1]
	v_pk_fma_f32 v[2:3], v[2:3], 0.5, v[4:5] op_sel_hi:[1,0,1] neg_lo:[1,0,0] neg_hi:[1,0,0]
	v_pk_add_f32 v[16:17], v[4:5], v[40:41]
	v_pk_fma_f32 v[10:11], v[6:7], s[2:3], v[2:3] op_sel:[1,0,0] op_sel_hi:[0,0,1]
	v_pk_fma_f32 v[2:3], v[6:7], s[2:3], v[2:3] op_sel:[1,0,0] op_sel_hi:[0,0,1] neg_lo:[1,0,0] neg_hi:[1,0,0]
	v_pk_fma_f32 v[2:3], v[12:13], s[6:7], v[2:3] op_sel:[1,0,0] op_sel_hi:[0,0,1] neg_lo:[1,0,0] neg_hi:[1,0,0]
	v_pk_fma_f32 v[10:11], v[12:13], s[6:7], v[10:11] op_sel:[1,0,0] op_sel_hi:[0,0,1]
	v_pk_add_f32 v[16:17], v[16:17], v[32:33]
	v_mov_b32_e32 v19, v3
	v_pk_add_f32 v[16:17], v[16:17], v[14:15]
	v_mov_b32_e32 v3, v11
	v_pk_add_f32 v[16:17], v[16:17], v[8:9]
	v_pk_fma_f32 v[2:3], v[0:1], s[8:9], v[2:3] op_sel_hi:[1,0,1]
	ds_write2_b64 v125, v[66:67], v[120:121] offset1:125
	ds_write2_b64 v47, v[16:17], v[2:3] offset0:98 offset1:223
	v_pk_add_f32 v[2:3], v[40:41], v[8:9]
	v_pk_add_f32 v[8:9], v[14:15], v[8:9] neg_lo:[0,1] neg_hi:[0,1]
	v_pk_fma_f32 v[2:3], v[2:3], 0.5, v[4:5] op_sel_hi:[1,0,1] neg_lo:[1,0,0] neg_hi:[1,0,0]
	v_pk_add_f32 v[4:5], v[32:33], v[40:41] neg_lo:[0,1] neg_hi:[0,1]
	v_mov_b32_e32 v18, v10
	v_pk_add_f32 v[4:5], v[4:5], v[8:9]
	v_pk_fma_f32 v[8:9], v[12:13], s[2:3], v[2:3] op_sel:[1,0,0] op_sel_hi:[0,0,1] neg_lo:[1,0,0] neg_hi:[1,0,0]
	v_pk_fma_f32 v[2:3], v[12:13], s[2:3], v[2:3] op_sel:[1,0,0] op_sel_hi:[0,0,1]
	v_pk_fma_f32 v[2:3], v[6:7], s[6:7], v[2:3] op_sel:[1,0,0] op_sel_hi:[0,0,1] neg_lo:[1,0,0] neg_hi:[1,0,0]
	v_pk_fma_f32 v[6:7], v[6:7], s[6:7], v[8:9] op_sel:[1,0,0] op_sel_hi:[0,0,1]
	v_mov_b32_e32 v8, v6
	v_mov_b32_e32 v9, v3
	;; [unrolled: 1-line block ×3, first 2 shown]
	v_pk_fma_f32 v[0:1], v[0:1], s[8:9], v[18:19] op_sel_hi:[1,0,1]
	v_pk_fma_f32 v[8:9], v[4:5], s[8:9], v[8:9] op_sel_hi:[1,0,1]
	;; [unrolled: 1-line block ×3, first 2 shown]
	ds_write2_b64 v59, v[2:3], v[8:9] offset0:92 offset1:217
	ds_write_b64 v39, v[0:1] offset:14000
	s_waitcnt lgkmcnt(0)
	s_barrier
	ds_read2_b64 v[0:3], v127 offset0:98 offset1:223
	ds_read2_b64 v[4:7], v135 offset0:110 offset1:235
	s_waitcnt lgkmcnt(1)
	v_pk_mul_f32 v[8:9], v[158:159], v[0:1] op_sel_hi:[0,1]
	v_pk_fma_f32 v[12:13], v[62:63], v[0:1], v[8:9] op_sel:[0,0,1] op_sel_hi:[1,1,0]
	v_pk_fma_f32 v[8:9], v[62:63], v[0:1], v[8:9] op_sel:[0,0,1] op_sel_hi:[0,1,0] neg_lo:[0,0,1] neg_hi:[0,0,1]
	v_pk_mul_f32 v[0:1], v[156:157], v[2:3] op_sel_hi:[0,1]
	s_waitcnt lgkmcnt(0)
	v_pk_mul_f32 v[10:11], v[68:69], v[4:5] op_sel:[1,0]
	v_pk_fma_f32 v[16:17], v[70:71], v[2:3], v[0:1] op_sel:[0,0,1] op_sel_hi:[1,1,0]
	v_pk_fma_f32 v[18:19], v[70:71], v[2:3], v[0:1] op_sel:[0,0,1] op_sel_hi:[0,1,0] neg_lo:[0,0,1] neg_hi:[0,0,1]
	ds_read2_b64 v[0:3], v131 offset0:92 offset1:217
	v_pk_fma_f32 v[14:15], v[68:69], v[4:5], v[10:11] op_sel:[0,0,1] op_sel_hi:[1,1,0]
	v_pk_fma_f32 v[10:11], v[68:69], v[4:5], v[10:11] op_sel:[0,0,1] op_sel_hi:[0,1,0] neg_lo:[0,0,1] neg_hi:[0,0,1]
	v_pk_mul_f32 v[4:5], v[72:73], v[6:7] op_sel:[1,0]
	v_mov_b32_e32 v13, v9
	v_pk_fma_f32 v[20:21], v[72:73], v[6:7], v[4:5] op_sel:[0,0,1] op_sel_hi:[1,1,0]
	v_pk_fma_f32 v[22:23], v[72:73], v[6:7], v[4:5] op_sel:[0,0,1] op_sel_hi:[0,1,0] neg_lo:[0,0,1] neg_hi:[0,0,1]
	ds_read2_b64 v[4:7], v137 offset0:104 offset1:229
	s_waitcnt lgkmcnt(1)
	v_pk_mul_f32 v[24:25], v[154:155], v[0:1] op_sel_hi:[0,1]
	v_pk_fma_f32 v[26:27], v[74:75], v[0:1], v[24:25] op_sel:[0,0,1] op_sel_hi:[1,1,0]
	v_pk_fma_f32 v[24:25], v[74:75], v[0:1], v[24:25] op_sel:[0,0,1] op_sel_hi:[0,1,0] neg_lo:[0,0,1] neg_hi:[0,0,1]
	v_pk_mul_f32 v[0:1], v[152:153], v[2:3] op_sel_hi:[0,1]
	v_pk_fma_f32 v[28:29], v[78:79], v[2:3], v[0:1] op_sel:[0,0,1] op_sel_hi:[1,1,0]
	v_pk_fma_f32 v[30:31], v[78:79], v[2:3], v[0:1] op_sel:[0,0,1] op_sel_hi:[0,1,0] neg_lo:[0,0,1] neg_hi:[0,0,1]
	s_waitcnt lgkmcnt(0)
	v_pk_mul_f32 v[0:1], v[76:77], v[4:5] op_sel:[1,0]
	v_pk_mul_f32 v[36:37], v[80:81], v[6:7] op_sel:[1,0]
	v_pk_fma_f32 v[32:33], v[76:77], v[4:5], v[0:1] op_sel:[0,0,1] op_sel_hi:[1,1,0]
	v_pk_fma_f32 v[34:35], v[76:77], v[4:5], v[0:1] op_sel:[0,0,1] op_sel_hi:[0,1,0] neg_lo:[0,0,1] neg_hi:[0,0,1]
	ds_read_b64 v[4:5], v125 offset:14000
	ds_read2_b64 v[0:3], v129 offset0:116 offset1:241
	v_pk_fma_f32 v[38:39], v[80:81], v[6:7], v[36:37] op_sel:[0,0,1] op_sel_hi:[1,1,0]
	v_pk_fma_f32 v[36:37], v[80:81], v[6:7], v[36:37] op_sel:[0,0,1] op_sel_hi:[0,1,0] neg_lo:[0,0,1] neg_hi:[0,0,1]
	v_mov_b32_e32 v33, v35
	s_waitcnt lgkmcnt(1)
	v_pk_mul_f32 v[6:7], v[164:165], v[4:5] op_sel_hi:[0,1]
	v_pk_fma_f32 v[40:41], v[82:83], v[4:5], v[6:7] op_sel:[0,0,1] op_sel_hi:[1,1,0]
	v_pk_fma_f32 v[42:43], v[82:83], v[4:5], v[6:7] op_sel:[0,0,1] op_sel_hi:[0,1,0] neg_lo:[0,0,1] neg_hi:[0,0,1]
	ds_read2_b64 v[4:7], v125 offset1:125
	s_waitcnt lgkmcnt(1)
	v_pk_mul_f32 v[44:45], v[60:61], v[2:3] op_sel:[1,0]
	v_mov_b32_e32 v15, v11
	v_pk_fma_f32 v[46:47], v[60:61], v[2:3], v[44:45] op_sel:[0,0,1] op_sel_hi:[1,1,0]
	v_pk_fma_f32 v[2:3], v[60:61], v[2:3], v[44:45] op_sel:[0,0,1] op_sel_hi:[0,1,0] neg_lo:[0,0,1] neg_hi:[0,0,1]
	v_mov_b32_e32 v47, v3
	s_waitcnt lgkmcnt(0)
	v_pk_add_f32 v[2:3], v[4:5], v[46:47]
	v_pk_add_f32 v[34:35], v[46:47], v[12:13]
	v_pk_add_f32 v[2:3], v[2:3], v[12:13]
	v_pk_add_f32 v[12:13], v[46:47], v[12:13] neg_lo:[0,1] neg_hi:[0,1]
	v_pk_fma_f32 v[4:5], v[34:35], 0.5, v[4:5] op_sel_hi:[1,0,1] neg_lo:[1,0,0] neg_hi:[1,0,0]
	v_pk_mul_f32 v[12:13], v[12:13], s[10:11] op_sel_hi:[1,0]
	v_mov_b32_e32 v17, v19
	v_pk_add_f32 v[34:35], v[4:5], v[12:13] op_sel:[0,1] op_sel_hi:[1,0] neg_lo:[0,1] neg_hi:[0,1]
	v_pk_add_f32 v[4:5], v[4:5], v[12:13] op_sel:[0,1] op_sel_hi:[1,0]
	ds_read2_b64 v[8:11], v139 offset0:122 offset1:247
	v_pk_add_f32 v[18:19], v[6:7], v[14:15]
	v_mov_b32_e32 v12, v34
	v_mov_b32_e32 v13, v5
	;; [unrolled: 1-line block ×3, first 2 shown]
	v_pk_add_f32 v[18:19], v[18:19], v[16:17]
	ds_write_b64 v125, v[12:13] offset:5000
	ds_write_b64 v125, v[4:5] offset:10000
	ds_write2_b64 v125, v[2:3], v[18:19] offset1:125
	v_pk_add_f32 v[2:3], v[14:15], v[16:17]
	v_pk_add_f32 v[4:5], v[14:15], v[16:17] neg_lo:[0,1] neg_hi:[0,1]
	v_pk_fma_f32 v[2:3], v[2:3], 0.5, v[6:7] op_sel_hi:[1,0,1] neg_lo:[1,0,0] neg_hi:[1,0,0]
	v_pk_mul_f32 v[4:5], v[4:5], s[10:11] op_sel_hi:[1,0]
	v_mov_b32_e32 v21, v23
	v_mov_b32_e32 v27, v25
	v_pk_add_f32 v[6:7], v[2:3], v[4:5] op_sel:[0,1] op_sel_hi:[1,0] neg_lo:[0,1] neg_hi:[0,1]
	v_pk_add_f32 v[2:3], v[2:3], v[4:5] op_sel:[0,1] op_sel_hi:[1,0]
	v_mov_b32_e32 v4, v6
	v_mov_b32_e32 v5, v3
	;; [unrolled: 1-line block ×3, first 2 shown]
	v_pk_add_f32 v[6:7], v[20:21], v[26:27]
	s_waitcnt lgkmcnt(3)
	v_pk_add_f32 v[22:23], v[8:9], v[20:21]
	v_pk_fma_f32 v[6:7], v[6:7], 0.5, v[8:9] op_sel_hi:[1,0,1] neg_lo:[1,0,0] neg_hi:[1,0,0]
	v_pk_add_f32 v[8:9], v[20:21], v[26:27] neg_lo:[0,1] neg_hi:[0,1]
	v_mov_b32_e32 v29, v31
	v_pk_mul_f32 v[8:9], v[8:9], s[10:11] op_sel_hi:[1,0]
	v_pk_add_f32 v[24:25], v[10:11], v[32:33]
	v_pk_add_f32 v[12:13], v[6:7], v[8:9] op_sel:[0,1] op_sel_hi:[1,0] neg_lo:[0,1] neg_hi:[0,1]
	v_pk_add_f32 v[6:7], v[6:7], v[8:9] op_sel:[0,1] op_sel_hi:[1,0]
	v_mov_b32_e32 v8, v12
	v_mov_b32_e32 v9, v7
	;; [unrolled: 1-line block ×3, first 2 shown]
	v_pk_add_f32 v[22:23], v[22:23], v[26:27]
	v_pk_add_f32 v[24:25], v[24:25], v[28:29]
	ds_write2_b64 v135, v[4:5], v[8:9] offset0:110 offset1:235
	ds_write2_b64 v63, v[2:3], v[6:7] offset0:95 offset1:220
	;; [unrolled: 1-line block ×3, first 2 shown]
	v_pk_add_f32 v[2:3], v[32:33], v[28:29]
	v_pk_add_f32 v[4:5], v[32:33], v[28:29] neg_lo:[0,1] neg_hi:[0,1]
	v_pk_fma_f32 v[2:3], v[2:3], 0.5, v[10:11] op_sel_hi:[1,0,1] neg_lo:[1,0,0] neg_hi:[1,0,0]
	v_pk_mul_f32 v[4:5], v[4:5], s[10:11] op_sel_hi:[1,0]
	v_mov_b32_e32 v39, v37
	v_pk_add_f32 v[6:7], v[2:3], v[4:5] op_sel:[0,1] op_sel_hi:[1,0] neg_lo:[0,1] neg_hi:[0,1]
	v_pk_add_f32 v[2:3], v[2:3], v[4:5] op_sel:[0,1] op_sel_hi:[1,0]
	v_mov_b32_e32 v41, v43
	v_pk_add_f32 v[30:31], v[0:1], v[38:39]
	v_mov_b32_e32 v5, v3
	v_mov_b32_e32 v3, v7
	v_pk_add_f32 v[30:31], v[30:31], v[40:41]
	ds_write_b64 v125, v[2:3] offset:13000
	ds_write_b64 v125, v[30:31] offset:4000
	v_pk_add_f32 v[2:3], v[38:39], v[40:41]
	v_mov_b32_e32 v4, v6
	v_pk_fma_f32 v[0:1], v[2:3], 0.5, v[0:1] op_sel_hi:[1,0,1] neg_lo:[1,0,0] neg_hi:[1,0,0]
	v_pk_add_f32 v[2:3], v[38:39], v[40:41] neg_lo:[0,1] neg_hi:[0,1]
	v_mov_b32_e32 v8, s0
	v_pk_mul_f32 v[2:3], v[2:3], s[10:11] op_sel_hi:[1,0]
	v_mov_b32_e32 v9, s1
	v_pk_add_f32 v[6:7], v[0:1], v[2:3] op_sel:[0,1] op_sel_hi:[1,0] neg_lo:[0,1] neg_hi:[0,1]
	v_pk_add_f32 v[0:1], v[0:1], v[2:3] op_sel:[0,1] op_sel_hi:[1,0]
	v_mov_b32_e32 v2, v6
	v_mov_b32_e32 v3, v1
	;; [unrolled: 1-line block ×3, first 2 shown]
	ds_write2_b64 v137, v[4:5], v[2:3] offset0:104 offset1:229
	ds_write_b64 v125, v[0:1] offset:14000
	s_waitcnt lgkmcnt(0)
	s_barrier
	ds_read2_b64 v[0:3], v125 offset1:125
	s_mov_b32 s0, 0x9cbd821e
	s_mov_b32 s1, 0x3f4179ec
	v_lshl_add_u64 v[8:9], v[100:101], 3, v[8:9]
	s_waitcnt lgkmcnt(0)
	v_mul_f32_e32 v4, v119, v1
	v_fmac_f32_e32 v4, v118, v0
	v_mul_f32_e32 v0, v119, v0
	v_fma_f32 v0, v118, v1, -v0
	v_cvt_f64_f32_e32 v[0:1], v0
	v_cvt_f64_f32_e32 v[4:5], v4
	v_mul_f64 v[0:1], v[0:1], s[0:1]
	v_mul_f64 v[4:5], v[4:5], s[0:1]
	v_cvt_f32_f64_e32 v11, v[0:1]
	v_mad_u64_u32 v[0:1], s[2:3], s4, v110, 0
	v_cvt_f32_f64_e32 v10, v[4:5]
	v_mov_b32_e32 v4, v1
	v_mad_u64_u32 v[12:13], s[2:3], s5, v110, v[4:5]
	ds_read2_b64 v[4:7], v139 offset0:122 offset1:247
	v_mov_b32_e32 v1, v12
	v_lshl_add_u64 v[0:1], v[0:1], 3, v[8:9]
	global_store_dwordx2 v[0:1], v[10:11], off
	v_mad_u64_u32 v[0:1], s[2:3], s4, v117, v[0:1]
	s_waitcnt lgkmcnt(0)
	v_mul_f32_e32 v8, v115, v7
	v_fmac_f32_e32 v8, v114, v6
	v_mul_f32_e32 v6, v115, v6
	v_fma_f32 v6, v114, v7, -v6
	v_cvt_f64_f32_e32 v[8:9], v8
	v_cvt_f64_f32_e32 v[6:7], v6
	v_mul_f64 v[8:9], v[8:9], s[0:1]
	v_mul_f64 v[6:7], v[6:7], s[0:1]
	v_cvt_f32_f64_e32 v10, v[8:9]
	v_cvt_f32_f64_e32 v11, v[6:7]
	ds_read2_b64 v[6:9], v135 offset0:110 offset1:235
	s_mul_i32 s2, s5, 0xbb8
	v_add_u32_e32 v1, s2, v1
	global_store_dwordx2 v[0:1], v[10:11], off
	v_mad_u64_u32 v[0:1], s[6:7], s4, v117, v[0:1]
	s_waitcnt lgkmcnt(0)
	v_mul_f32_e32 v10, v113, v7
	v_fmac_f32_e32 v10, v112, v6
	v_cvt_f64_f32_e32 v[10:11], v10
	v_mul_f64 v[10:11], v[10:11], s[0:1]
	v_cvt_f32_f64_e32 v14, v[10:11]
	ds_read2_b64 v[10:13], v137 offset0:104 offset1:229
	v_mul_f32_e32 v6, v113, v6
	v_fma_f32 v6, v112, v7, -v6
	v_cvt_f64_f32_e32 v[6:7], v6
	v_mul_f64 v[6:7], v[6:7], s[0:1]
	v_cvt_f32_f64_e32 v15, v[6:7]
	s_waitcnt lgkmcnt(0)
	v_mul_f32_e32 v6, v109, v13
	v_fmac_f32_e32 v6, v108, v12
	v_cvt_f64_f32_e32 v[6:7], v6
	v_mul_f64 v[6:7], v[6:7], s[0:1]
	v_cvt_f32_f64_e32 v6, v[6:7]
	v_mul_f32_e32 v7, v109, v12
	v_fma_f32 v7, v108, v13, -v7
	v_cvt_f64_f32_e32 v[12:13], v7
	v_add_u32_e32 v1, s2, v1
	v_mul_f64 v[12:13], v[12:13], s[0:1]
	global_store_dwordx2 v[0:1], v[14:15], off
	v_cvt_f32_f64_e32 v7, v[12:13]
	ds_read2_b64 v[12:15], v131 offset0:92 offset1:217
	v_mad_u64_u32 v[0:1], s[6:7], s4, v117, v[0:1]
	v_add_u32_e32 v1, s2, v1
	global_store_dwordx2 v[0:1], v[6:7], off
	s_waitcnt lgkmcnt(0)
	v_mul_f32_e32 v6, v105, v13
	v_fmac_f32_e32 v6, v104, v12
	v_cvt_f64_f32_e32 v[6:7], v6
	v_mul_f64 v[6:7], v[6:7], s[0:1]
	v_cvt_f32_f64_e32 v6, v[6:7]
	v_mul_f32_e32 v7, v105, v12
	v_fma_f32 v7, v104, v13, -v7
	v_cvt_f64_f32_e32 v[12:13], v7
	v_mul_f64 v[12:13], v[12:13], s[0:1]
	v_mad_u64_u32 v[0:1], s[6:7], s4, v117, v[0:1]
	v_cvt_f32_f64_e32 v7, v[12:13]
	v_add_u32_e32 v1, s2, v1
	global_store_dwordx2 v[0:1], v[6:7], off
	v_mul_f32_e32 v6, v107, v3
	v_fmac_f32_e32 v6, v106, v2
	v_mul_f32_e32 v2, v107, v2
	v_fma_f32 v2, v106, v3, -v2
	v_cvt_f64_f32_e32 v[6:7], v6
	v_cvt_f64_f32_e32 v[2:3], v2
	v_mul_f64 v[6:7], v[6:7], s[0:1]
	v_mul_f64 v[2:3], v[2:3], s[0:1]
	v_cvt_f32_f64_e32 v6, v[6:7]
	v_cvt_f32_f64_e32 v7, v[2:3]
	v_mad_u64_u32 v[12:13], s[6:7], s4, v123, v[0:1]
	ds_read2_b64 v[0:3], v129 offset0:116 offset1:241
	s_mul_i32 s3, s5, 0xffffd508
	s_sub_i32 s3, s3, s4
	v_add_u32_e32 v13, s3, v13
	global_store_dwordx2 v[12:13], v[6:7], off
	s_waitcnt lgkmcnt(0)
	v_mul_f32_e32 v6, v103, v1
	v_fmac_f32_e32 v6, v102, v0
	v_mul_f32_e32 v0, v103, v0
	v_fma_f32 v0, v102, v1, -v0
	v_cvt_f64_f32_e32 v[6:7], v6
	v_cvt_f64_f32_e32 v[0:1], v0
	v_mul_f64 v[6:7], v[6:7], s[0:1]
	v_mul_f64 v[0:1], v[0:1], s[0:1]
	v_cvt_f32_f64_e32 v6, v[6:7]
	v_cvt_f32_f64_e32 v7, v[0:1]
	v_mad_u64_u32 v[0:1], s[6:7], s4, v117, v[12:13]
	v_add_u32_e32 v1, s2, v1
	global_store_dwordx2 v[0:1], v[6:7], off
	v_mul_f32_e32 v6, v97, v9
	v_fmac_f32_e32 v6, v96, v8
	v_cvt_f64_f32_e32 v[6:7], v6
	v_mul_f64 v[6:7], v[6:7], s[0:1]
	v_cvt_f32_f64_e32 v12, v[6:7]
	v_mul_f32_e32 v6, v97, v8
	v_fma_f32 v6, v96, v9, -v6
	v_cvt_f64_f32_e32 v[6:7], v6
	v_mul_f64 v[6:7], v[6:7], s[0:1]
	v_cvt_f32_f64_e32 v13, v[6:7]
	ds_read2_b64 v[6:9], v127 offset0:98 offset1:223
	v_mad_u64_u32 v[0:1], s[6:7], s4, v117, v[0:1]
	v_add_u32_e32 v1, s2, v1
	global_store_dwordx2 v[0:1], v[12:13], off
	s_waitcnt lgkmcnt(0)
	v_mul_f32_e32 v12, v93, v7
	v_fmac_f32_e32 v12, v92, v6
	v_mul_f32_e32 v6, v93, v6
	v_fma_f32 v6, v92, v7, -v6
	v_cvt_f64_f32_e32 v[12:13], v12
	v_cvt_f64_f32_e32 v[6:7], v6
	v_mul_f64 v[12:13], v[12:13], s[0:1]
	v_mul_f64 v[6:7], v[6:7], s[0:1]
	v_cvt_f32_f64_e32 v12, v[12:13]
	v_cvt_f32_f64_e32 v13, v[6:7]
	v_mul_f32_e32 v6, v95, v15
	v_fmac_f32_e32 v6, v94, v14
	v_cvt_f64_f32_e32 v[6:7], v6
	v_mul_f64 v[6:7], v[6:7], s[0:1]
	v_mad_u64_u32 v[0:1], s[6:7], s4, v117, v[0:1]
	v_cvt_f32_f64_e32 v6, v[6:7]
	v_mul_f32_e32 v7, v95, v14
	v_add_u32_e32 v1, s2, v1
	v_fma_f32 v7, v94, v15, -v7
	global_store_dwordx2 v[0:1], v[12:13], off
	v_cvt_f64_f32_e32 v[12:13], v7
	v_mul_f64 v[12:13], v[12:13], s[0:1]
	v_mad_u64_u32 v[0:1], s[6:7], s4, v117, v[0:1]
	v_cvt_f32_f64_e32 v7, v[12:13]
	v_add_u32_e32 v1, s2, v1
	global_store_dwordx2 v[0:1], v[6:7], off
	v_mul_f32_e32 v6, v91, v5
	v_fmac_f32_e32 v6, v90, v4
	v_mul_f32_e32 v4, v91, v4
	v_fma_f32 v4, v90, v5, -v4
	v_cvt_f64_f32_e32 v[6:7], v6
	v_cvt_f64_f32_e32 v[4:5], v4
	v_mul_f64 v[6:7], v[6:7], s[0:1]
	v_mul_f64 v[4:5], v[4:5], s[0:1]
	v_cvt_f32_f64_e32 v6, v[6:7]
	v_cvt_f32_f64_e32 v7, v[4:5]
	v_mul_f32_e32 v4, v99, v3
	v_fmac_f32_e32 v4, v98, v2
	v_mul_f32_e32 v2, v99, v2
	v_fma_f32 v2, v98, v3, -v2
	v_cvt_f64_f32_e32 v[4:5], v4
	v_cvt_f64_f32_e32 v[2:3], v2
	v_mul_f64 v[4:5], v[4:5], s[0:1]
	v_mul_f64 v[2:3], v[2:3], s[0:1]
	v_cvt_f32_f64_e32 v4, v[4:5]
	v_cvt_f32_f64_e32 v5, v[2:3]
	v_mul_f32_e32 v2, v87, v11
	v_fmac_f32_e32 v2, v86, v10
	v_mad_u64_u32 v[0:1], s[6:7], s4, v123, v[0:1]
	v_cvt_f64_f32_e32 v[2:3], v2
	v_add_u32_e32 v1, s3, v1
	v_mul_f64 v[2:3], v[2:3], s[0:1]
	global_store_dwordx2 v[0:1], v[6:7], off
	v_mad_u64_u32 v[0:1], s[6:7], s4, v117, v[0:1]
	v_cvt_f32_f64_e32 v2, v[2:3]
	v_mul_f32_e32 v3, v87, v10
	v_add_u32_e32 v1, s2, v1
	v_fma_f32 v3, v86, v11, -v3
	global_store_dwordx2 v[0:1], v[4:5], off
	v_cvt_f64_f32_e32 v[4:5], v3
	v_mul_f64 v[4:5], v[4:5], s[0:1]
	v_mad_u64_u32 v[0:1], s[6:7], s4, v117, v[0:1]
	v_cvt_f32_f64_e32 v3, v[4:5]
	v_add_u32_e32 v1, s2, v1
	global_store_dwordx2 v[0:1], v[2:3], off
	v_mul_f32_e32 v2, v89, v9
	v_fmac_f32_e32 v2, v88, v8
	v_cvt_f64_f32_e32 v[2:3], v2
	v_mul_f64 v[2:3], v[2:3], s[0:1]
	v_cvt_f32_f64_e32 v2, v[2:3]
	v_mul_f32_e32 v3, v89, v8
	v_fma_f32 v3, v88, v9, -v3
	v_cvt_f64_f32_e32 v[4:5], v3
	v_mul_f64 v[4:5], v[4:5], s[0:1]
	v_cvt_f32_f64_e32 v3, v[4:5]
	ds_read_b64 v[4:5], v125 offset:14000
	v_mad_u64_u32 v[0:1], s[6:7], s4, v117, v[0:1]
	v_add_u32_e32 v1, s2, v1
	global_store_dwordx2 v[0:1], v[2:3], off
	s_waitcnt lgkmcnt(0)
	v_mul_f32_e32 v2, v85, v5
	v_fmac_f32_e32 v2, v84, v4
	v_cvt_f64_f32_e32 v[2:3], v2
	v_mul_f64 v[2:3], v[2:3], s[0:1]
	v_cvt_f32_f64_e32 v2, v[2:3]
	v_mul_f32_e32 v3, v85, v4
	v_fma_f32 v3, v84, v5, -v3
	v_cvt_f64_f32_e32 v[4:5], v3
	v_mul_f64 v[4:5], v[4:5], s[0:1]
	v_mad_u64_u32 v[0:1], s[0:1], s4, v117, v[0:1]
	v_cvt_f32_f64_e32 v3, v[4:5]
	v_add_u32_e32 v1, s2, v1
	global_store_dwordx2 v[0:1], v[2:3], off
.LBB0_2:
	s_endpgm
	.section	.rodata,"a",@progbits
	.p2align	6, 0x0
	.amdhsa_kernel bluestein_single_fwd_len1875_dim1_sp_op_CI_CI
		.amdhsa_group_segment_fixed_size 30000
		.amdhsa_private_segment_fixed_size 0
		.amdhsa_kernarg_size 104
		.amdhsa_user_sgpr_count 2
		.amdhsa_user_sgpr_dispatch_ptr 0
		.amdhsa_user_sgpr_queue_ptr 0
		.amdhsa_user_sgpr_kernarg_segment_ptr 1
		.amdhsa_user_sgpr_dispatch_id 0
		.amdhsa_user_sgpr_kernarg_preload_length 0
		.amdhsa_user_sgpr_kernarg_preload_offset 0
		.amdhsa_user_sgpr_private_segment_size 0
		.amdhsa_uses_dynamic_stack 0
		.amdhsa_enable_private_segment 0
		.amdhsa_system_sgpr_workgroup_id_x 1
		.amdhsa_system_sgpr_workgroup_id_y 0
		.amdhsa_system_sgpr_workgroup_id_z 0
		.amdhsa_system_sgpr_workgroup_info 0
		.amdhsa_system_vgpr_workitem_id 0
		.amdhsa_next_free_vgpr 206
		.amdhsa_next_free_sgpr 20
		.amdhsa_accum_offset 208
		.amdhsa_reserve_vcc 1
		.amdhsa_float_round_mode_32 0
		.amdhsa_float_round_mode_16_64 0
		.amdhsa_float_denorm_mode_32 3
		.amdhsa_float_denorm_mode_16_64 3
		.amdhsa_dx10_clamp 1
		.amdhsa_ieee_mode 1
		.amdhsa_fp16_overflow 0
		.amdhsa_tg_split 0
		.amdhsa_exception_fp_ieee_invalid_op 0
		.amdhsa_exception_fp_denorm_src 0
		.amdhsa_exception_fp_ieee_div_zero 0
		.amdhsa_exception_fp_ieee_overflow 0
		.amdhsa_exception_fp_ieee_underflow 0
		.amdhsa_exception_fp_ieee_inexact 0
		.amdhsa_exception_int_div_zero 0
	.end_amdhsa_kernel
	.text
.Lfunc_end0:
	.size	bluestein_single_fwd_len1875_dim1_sp_op_CI_CI, .Lfunc_end0-bluestein_single_fwd_len1875_dim1_sp_op_CI_CI
                                        ; -- End function
	.section	.AMDGPU.csdata,"",@progbits
; Kernel info:
; codeLenInByte = 15812
; NumSgprs: 26
; NumVgprs: 206
; NumAgprs: 0
; TotalNumVgprs: 206
; ScratchSize: 0
; MemoryBound: 0
; FloatMode: 240
; IeeeMode: 1
; LDSByteSize: 30000 bytes/workgroup (compile time only)
; SGPRBlocks: 3
; VGPRBlocks: 25
; NumSGPRsForWavesPerEU: 26
; NumVGPRsForWavesPerEU: 206
; AccumOffset: 208
; Occupancy: 2
; WaveLimiterHint : 1
; COMPUTE_PGM_RSRC2:SCRATCH_EN: 0
; COMPUTE_PGM_RSRC2:USER_SGPR: 2
; COMPUTE_PGM_RSRC2:TRAP_HANDLER: 0
; COMPUTE_PGM_RSRC2:TGID_X_EN: 1
; COMPUTE_PGM_RSRC2:TGID_Y_EN: 0
; COMPUTE_PGM_RSRC2:TGID_Z_EN: 0
; COMPUTE_PGM_RSRC2:TIDIG_COMP_CNT: 0
; COMPUTE_PGM_RSRC3_GFX90A:ACCUM_OFFSET: 51
; COMPUTE_PGM_RSRC3_GFX90A:TG_SPLIT: 0
	.text
	.p2alignl 6, 3212836864
	.fill 256, 4, 3212836864
	.type	__hip_cuid_59e6a29e4923e3be,@object ; @__hip_cuid_59e6a29e4923e3be
	.section	.bss,"aw",@nobits
	.globl	__hip_cuid_59e6a29e4923e3be
__hip_cuid_59e6a29e4923e3be:
	.byte	0                               ; 0x0
	.size	__hip_cuid_59e6a29e4923e3be, 1

	.ident	"AMD clang version 19.0.0git (https://github.com/RadeonOpenCompute/llvm-project roc-6.4.0 25133 c7fe45cf4b819c5991fe208aaa96edf142730f1d)"
	.section	".note.GNU-stack","",@progbits
	.addrsig
	.addrsig_sym __hip_cuid_59e6a29e4923e3be
	.amdgpu_metadata
---
amdhsa.kernels:
  - .agpr_count:     0
    .args:
      - .actual_access:  read_only
        .address_space:  global
        .offset:         0
        .size:           8
        .value_kind:     global_buffer
      - .actual_access:  read_only
        .address_space:  global
        .offset:         8
        .size:           8
        .value_kind:     global_buffer
      - .actual_access:  read_only
        .address_space:  global
        .offset:         16
        .size:           8
        .value_kind:     global_buffer
      - .actual_access:  read_only
        .address_space:  global
        .offset:         24
        .size:           8
        .value_kind:     global_buffer
      - .actual_access:  read_only
        .address_space:  global
        .offset:         32
        .size:           8
        .value_kind:     global_buffer
      - .offset:         40
        .size:           8
        .value_kind:     by_value
      - .address_space:  global
        .offset:         48
        .size:           8
        .value_kind:     global_buffer
      - .address_space:  global
        .offset:         56
        .size:           8
        .value_kind:     global_buffer
      - .address_space:  global
        .offset:         64
        .size:           8
        .value_kind:     global_buffer
      - .address_space:  global
        .offset:         72
        .size:           8
        .value_kind:     global_buffer
      - .offset:         80
        .size:           4
        .value_kind:     by_value
      - .address_space:  global
        .offset:         88
        .size:           8
        .value_kind:     global_buffer
      - .address_space:  global
        .offset:         96
        .size:           8
        .value_kind:     global_buffer
    .group_segment_fixed_size: 30000
    .kernarg_segment_align: 8
    .kernarg_segment_size: 104
    .language:       OpenCL C
    .language_version:
      - 2
      - 0
    .max_flat_workgroup_size: 250
    .name:           bluestein_single_fwd_len1875_dim1_sp_op_CI_CI
    .private_segment_fixed_size: 0
    .sgpr_count:     26
    .sgpr_spill_count: 0
    .symbol:         bluestein_single_fwd_len1875_dim1_sp_op_CI_CI.kd
    .uniform_work_group_size: 1
    .uses_dynamic_stack: false
    .vgpr_count:     206
    .vgpr_spill_count: 0
    .wavefront_size: 64
amdhsa.target:   amdgcn-amd-amdhsa--gfx950
amdhsa.version:
  - 1
  - 2
...

	.end_amdgpu_metadata
